;; amdgpu-corpus repo=ROCm/rocFFT kind=compiled arch=gfx906 opt=O3
	.text
	.amdgcn_target "amdgcn-amd-amdhsa--gfx906"
	.amdhsa_code_object_version 6
	.protected	bluestein_single_fwd_len1275_dim1_half_op_CI_CI ; -- Begin function bluestein_single_fwd_len1275_dim1_half_op_CI_CI
	.globl	bluestein_single_fwd_len1275_dim1_half_op_CI_CI
	.p2align	8
	.type	bluestein_single_fwd_len1275_dim1_half_op_CI_CI,@function
bluestein_single_fwd_len1275_dim1_half_op_CI_CI: ; @bluestein_single_fwd_len1275_dim1_half_op_CI_CI
; %bb.0:
	v_mul_u32_u24_e32 v1, 0x304, v0
	s_load_dwordx4 s[0:3], s[4:5], 0x28
	v_lshrrev_b32_e32 v1, 16, v1
	v_mad_u64_u32 v[24:25], s[6:7], s6, 3, v[1:2]
	v_mov_b32_e32 v25, 0
	s_waitcnt lgkmcnt(0)
	v_cmp_gt_u64_e32 vcc, s[0:1], v[24:25]
	s_and_saveexec_b64 s[0:1], vcc
	s_cbranch_execz .LBB0_15
; %bb.1:
	s_mov_b32 s0, 0xaaaaaaab
	v_mul_hi_u32 v2, v24, s0
	v_mul_lo_u16_e32 v1, 0x55, v1
	s_load_dwordx2 s[6:7], s[4:5], 0x0
	s_load_dwordx2 s[12:13], s[4:5], 0x38
	v_sub_u16_e32 v52, v0, v1
	v_lshrrev_b32_e32 v0, 1, v2
	v_lshl_add_u32 v0, v0, 1, v0
	v_sub_u32_e32 v0, v24, v0
	v_mul_u32_u24_e32 v16, 0x4fb, v0
	s_movk_i32 s0, 0x4b
	v_cmp_gt_u16_e64 s[0:1], s0, v52
	v_lshlrev_b32_e32 v51, 2, v52
	v_lshlrev_b32_e32 v54, 2, v16
	s_and_saveexec_b64 s[8:9], s[0:1]
	s_cbranch_execz .LBB0_3
; %bb.2:
	s_load_dwordx2 s[10:11], s[4:5], 0x18
	s_waitcnt lgkmcnt(0)
	v_mov_b32_e32 v12, s7
	v_lshl_add_u32 v13, v52, 2, v54
	v_add_u32_e32 v14, v54, v51
	s_load_dwordx4 s[16:19], s[10:11], 0x0
	s_waitcnt lgkmcnt(0)
	v_mad_u64_u32 v[0:1], s[10:11], s18, v24, 0
	v_mad_u64_u32 v[2:3], s[10:11], s16, v52, 0
	;; [unrolled: 1-line block ×4, first 2 shown]
	v_mov_b32_e32 v1, v4
	v_lshlrev_b64 v[0:1], 2, v[0:1]
	v_mov_b32_e32 v3, v5
	v_mov_b32_e32 v6, s3
	v_lshlrev_b64 v[2:3], 2, v[2:3]
	v_add_co_u32_e32 v0, vcc, s2, v0
	v_addc_co_u32_e32 v1, vcc, v6, v1, vcc
	v_add_co_u32_e32 v0, vcc, v0, v2
	s_mul_i32 s2, s17, 0x12c
	s_mul_hi_u32 s3, s16, 0x12c
	v_addc_co_u32_e32 v1, vcc, v1, v3, vcc
	s_add_i32 s2, s3, s2
	s_mul_i32 s3, s16, 0x12c
	v_mov_b32_e32 v3, s2
	v_add_co_u32_e32 v2, vcc, s3, v0
	v_addc_co_u32_e32 v3, vcc, v1, v3, vcc
	global_load_dword v4, v[0:1], off
	global_load_dword v5, v[2:3], off
	global_load_dword v6, v51, s[6:7]
	global_load_dword v7, v51, s[6:7] offset:300
	v_mov_b32_e32 v1, s2
	v_add_co_u32_e32 v0, vcc, s3, v2
	v_addc_co_u32_e32 v1, vcc, v3, v1, vcc
	global_load_dword v2, v[0:1], off
	global_load_dword v3, v51, s[6:7] offset:600
	v_mov_b32_e32 v8, s2
	v_add_co_u32_e32 v0, vcc, s3, v0
	v_addc_co_u32_e32 v1, vcc, v1, v8, vcc
	global_load_dword v8, v[0:1], off
	;; [unrolled: 5-line block ×3, first 2 shown]
	global_load_dword v11, v51, s[6:7] offset:1200
	v_add_co_u32_e32 v19, vcc, s6, v51
	v_addc_co_u32_e32 v12, vcc, 0, v12, vcc
	v_mov_b32_e32 v20, s2
	v_add_co_u32_e32 v0, vcc, s3, v0
	v_addc_co_u32_e32 v1, vcc, v1, v20, vcc
	global_load_dword v15, v51, s[6:7] offset:1500
	global_load_dword v17, v51, s[6:7] offset:1800
	;; [unrolled: 1-line block ×3, first 2 shown]
	v_mov_b32_e32 v21, s2
	global_load_dword v20, v[0:1], off
	v_add_co_u32_e32 v0, vcc, s3, v0
	v_addc_co_u32_e32 v1, vcc, v1, v21, vcc
	s_movk_i32 s10, 0x1000
	v_mov_b32_e32 v32, s2
	s_waitcnt vmcnt(13)
	v_lshrrev_b32_e32 v21, 16, v4
	s_waitcnt vmcnt(11)
	v_mul_f16_sdwa v22, v6, v4 dst_sel:DWORD dst_unused:UNUSED_PAD src0_sel:WORD_1 src1_sel:DWORD
	v_mul_f16_sdwa v23, v6, v21 dst_sel:DWORD dst_unused:UNUSED_PAD src0_sel:WORD_1 src1_sel:DWORD
	v_fma_f16 v21, v6, v21, -v22
	v_lshrrev_b32_e32 v22, 16, v5
	s_waitcnt vmcnt(10)
	v_mul_f16_sdwa v25, v7, v5 dst_sel:DWORD dst_unused:UNUSED_PAD src0_sel:WORD_1 src1_sel:DWORD
	v_fma_f16 v4, v6, v4, v23
	v_mul_f16_sdwa v6, v7, v22 dst_sel:DWORD dst_unused:UNUSED_PAD src0_sel:WORD_1 src1_sel:DWORD
	s_waitcnt vmcnt(9)
	v_lshrrev_b32_e32 v23, 16, v2
	v_fma_f16 v22, v7, v22, -v25
	s_waitcnt vmcnt(8)
	v_mul_f16_sdwa v25, v3, v2 dst_sel:DWORD dst_unused:UNUSED_PAD src0_sel:WORD_1 src1_sel:DWORD
	v_pack_b32_f16 v4, v4, v21
	v_fma_f16 v5, v7, v5, v6
	v_mul_f16_sdwa v6, v3, v23 dst_sel:DWORD dst_unused:UNUSED_PAD src0_sel:WORD_1 src1_sel:DWORD
	s_waitcnt vmcnt(7)
	v_lshrrev_b32_e32 v21, 16, v8
	v_fma_f16 v7, v3, v23, -v25
	s_waitcnt vmcnt(6)
	v_mul_f16_sdwa v23, v9, v8 dst_sel:DWORD dst_unused:UNUSED_PAD src0_sel:WORD_1 src1_sel:DWORD
	v_fma_f16 v2, v3, v2, v6
	v_mul_f16_sdwa v3, v9, v21 dst_sel:DWORD dst_unused:UNUSED_PAD src0_sel:WORD_1 src1_sel:DWORD
	s_waitcnt vmcnt(5)
	v_lshrrev_b32_e32 v6, 16, v10
	ds_write_b32 v13, v4
	v_pack_b32_f16 v4, v5, v22
	v_fma_f16 v5, v9, v21, -v23
	v_pack_b32_f16 v2, v2, v7
	v_fma_f16 v3, v9, v8, v3
	s_waitcnt vmcnt(4)
	v_mul_f16_sdwa v7, v11, v6 dst_sel:DWORD dst_unused:UNUSED_PAD src0_sel:WORD_1 src1_sel:DWORD
	ds_write2_b32 v14, v4, v2 offset0:75 offset1:150
	v_pack_b32_f16 v4, v3, v5
	v_fma_f16 v5, v11, v10, v7
	global_load_dword v7, v[0:1], off
	v_mov_b32_e32 v2, s2
	v_add_co_u32_e32 v0, vcc, s3, v0
	v_addc_co_u32_e32 v1, vcc, v1, v2, vcc
	global_load_dword v8, v[0:1], off
	v_add_co_u32_e32 v0, vcc, s3, v0
	v_addc_co_u32_e32 v1, vcc, v1, v2, vcc
	global_load_dword v9, v[0:1], off
	v_add_co_u32_e32 v0, vcc, s3, v0
	v_mul_f16_sdwa v13, v11, v10 dst_sel:DWORD dst_unused:UNUSED_PAD src0_sel:WORD_1 src1_sel:DWORD
	v_addc_co_u32_e32 v1, vcc, v1, v2, vcc
	v_fma_f16 v6, v11, v6, -v13
	global_load_dword v10, v[0:1], off
	global_load_dword v11, v51, s[6:7] offset:2400
	global_load_dword v13, v51, s[6:7] offset:2700
	v_add_co_u32_e32 v0, vcc, s3, v0
	v_addc_co_u32_e32 v1, vcc, v1, v2, vcc
	global_load_dword v21, v[0:1], off
	v_add_co_u32_e32 v0, vcc, s3, v0
	v_addc_co_u32_e32 v1, vcc, v1, v2, vcc
	global_load_dword v22, v[0:1], off
	global_load_dword v23, v51, s[6:7] offset:3000
	global_load_dword v25, v51, s[6:7] offset:3300
	v_add_co_u32_e32 v0, vcc, s3, v0
	v_addc_co_u32_e32 v1, vcc, v1, v2, vcc
	global_load_dword v26, v[0:1], off
	v_add_co_u32_e32 v0, vcc, s3, v0
	v_addc_co_u32_e32 v1, vcc, v1, v2, vcc
	global_load_dword v27, v51, s[6:7] offset:3600
	global_load_dword v28, v[0:1], off
	global_load_dword v29, v51, s[6:7] offset:3900
	v_add_co_u32_e32 v0, vcc, s3, v0
	v_addc_co_u32_e32 v1, vcc, v1, v2, vcc
	v_add_co_u32_e32 v2, vcc, s10, v19
	global_load_dword v30, v[0:1], off
	v_addc_co_u32_e32 v3, vcc, 0, v12, vcc
	global_load_dword v12, v[2:3], off offset:104
	v_mov_b32_e32 v19, s2
	v_add_co_u32_e32 v0, vcc, s3, v0
	v_addc_co_u32_e32 v1, vcc, v1, v19, vcc
	global_load_dword v19, v[0:1], off
	global_load_dword v31, v[2:3], off offset:404
	v_add_co_u32_e32 v0, vcc, s3, v0
	v_addc_co_u32_e32 v1, vcc, v1, v32, vcc
	global_load_dword v32, v[0:1], off
	global_load_dword v33, v[2:3], off offset:704
	v_pack_b32_f16 v0, v5, v6
	v_add_u32_e32 v1, 0x200, v14
	ds_write2_b32 v1, v4, v0 offset0:97 offset1:172
	s_waitcnt vmcnt(20)
	v_lshrrev_b32_e32 v0, 16, v20
	v_mul_f16_sdwa v1, v15, v0 dst_sel:DWORD dst_unused:UNUSED_PAD src0_sel:WORD_1 src1_sel:DWORD
	v_mul_f16_sdwa v2, v15, v20 dst_sel:DWORD dst_unused:UNUSED_PAD src0_sel:WORD_1 src1_sel:DWORD
	v_fma_f16 v1, v15, v20, v1
	v_fma_f16 v0, v15, v0, -v2
	v_pack_b32_f16 v0, v1, v0
	s_waitcnt vmcnt(19)
	v_lshrrev_b32_e32 v1, 16, v7
	v_mul_f16_sdwa v2, v17, v1 dst_sel:DWORD dst_unused:UNUSED_PAD src0_sel:WORD_1 src1_sel:DWORD
	v_mul_f16_sdwa v3, v17, v7 dst_sel:DWORD dst_unused:UNUSED_PAD src0_sel:WORD_1 src1_sel:DWORD
	v_fma_f16 v2, v17, v7, v2
	v_fma_f16 v1, v17, v1, -v3
	v_pack_b32_f16 v1, v2, v1
	v_add_u32_e32 v2, 0x400, v14
	ds_write2_b32 v2, v0, v1 offset0:119 offset1:194
	s_waitcnt vmcnt(18)
	v_lshrrev_b32_e32 v0, 16, v8
	v_mul_f16_sdwa v1, v18, v0 dst_sel:DWORD dst_unused:UNUSED_PAD src0_sel:WORD_1 src1_sel:DWORD
	v_mul_f16_sdwa v2, v18, v8 dst_sel:DWORD dst_unused:UNUSED_PAD src0_sel:WORD_1 src1_sel:DWORD
	v_fma_f16 v1, v18, v8, v1
	v_fma_f16 v0, v18, v0, -v2
	v_pack_b32_f16 v0, v1, v0
	s_waitcnt vmcnt(17)
	v_lshrrev_b32_e32 v1, 16, v9
	s_waitcnt vmcnt(15)
	v_mul_f16_sdwa v2, v11, v1 dst_sel:DWORD dst_unused:UNUSED_PAD src0_sel:WORD_1 src1_sel:DWORD
	v_mul_f16_sdwa v3, v11, v9 dst_sel:DWORD dst_unused:UNUSED_PAD src0_sel:WORD_1 src1_sel:DWORD
	v_fma_f16 v2, v11, v9, v2
	v_fma_f16 v1, v11, v1, -v3
	v_pack_b32_f16 v1, v2, v1
	v_add_u32_e32 v2, 0x800, v14
	ds_write2_b32 v2, v0, v1 offset0:13 offset1:88
	v_lshrrev_b32_e32 v0, 16, v10
	s_waitcnt vmcnt(14)
	v_mul_f16_sdwa v1, v13, v0 dst_sel:DWORD dst_unused:UNUSED_PAD src0_sel:WORD_1 src1_sel:DWORD
	v_mul_f16_sdwa v3, v13, v10 dst_sel:DWORD dst_unused:UNUSED_PAD src0_sel:WORD_1 src1_sel:DWORD
	v_fma_f16 v1, v13, v10, v1
	v_fma_f16 v0, v13, v0, -v3
	v_pack_b32_f16 v0, v1, v0
	s_waitcnt vmcnt(13)
	v_lshrrev_b32_e32 v1, 16, v21
	s_waitcnt vmcnt(11)
	v_mul_f16_sdwa v3, v23, v1 dst_sel:DWORD dst_unused:UNUSED_PAD src0_sel:WORD_1 src1_sel:DWORD
	v_mul_f16_sdwa v4, v23, v21 dst_sel:DWORD dst_unused:UNUSED_PAD src0_sel:WORD_1 src1_sel:DWORD
	v_fma_f16 v3, v23, v21, v3
	v_fma_f16 v1, v23, v1, -v4
	v_pack_b32_f16 v1, v3, v1
	ds_write2_b32 v2, v0, v1 offset0:163 offset1:238
	v_lshrrev_b32_e32 v0, 16, v22
	s_waitcnt vmcnt(10)
	v_mul_f16_sdwa v1, v25, v0 dst_sel:DWORD dst_unused:UNUSED_PAD src0_sel:WORD_1 src1_sel:DWORD
	v_mul_f16_sdwa v2, v25, v22 dst_sel:DWORD dst_unused:UNUSED_PAD src0_sel:WORD_1 src1_sel:DWORD
	v_fma_f16 v1, v25, v22, v1
	v_fma_f16 v0, v25, v0, -v2
	v_pack_b32_f16 v0, v1, v0
	s_waitcnt vmcnt(9)
	v_lshrrev_b32_e32 v1, 16, v26
	s_waitcnt vmcnt(8)
	v_mul_f16_sdwa v2, v27, v1 dst_sel:DWORD dst_unused:UNUSED_PAD src0_sel:WORD_1 src1_sel:DWORD
	v_mul_f16_sdwa v3, v27, v26 dst_sel:DWORD dst_unused:UNUSED_PAD src0_sel:WORD_1 src1_sel:DWORD
	v_fma_f16 v2, v27, v26, v2
	v_fma_f16 v1, v27, v1, -v3
	v_pack_b32_f16 v1, v2, v1
	v_add_u32_e32 v2, 0xc00, v14
	ds_write2_b32 v2, v0, v1 offset0:57 offset1:132
	s_waitcnt vmcnt(7)
	v_lshrrev_b32_e32 v0, 16, v28
	s_waitcnt vmcnt(6)
	v_mul_f16_sdwa v1, v29, v0 dst_sel:DWORD dst_unused:UNUSED_PAD src0_sel:WORD_1 src1_sel:DWORD
	v_mul_f16_sdwa v2, v29, v28 dst_sel:DWORD dst_unused:UNUSED_PAD src0_sel:WORD_1 src1_sel:DWORD
	v_fma_f16 v1, v29, v28, v1
	v_fma_f16 v0, v29, v0, -v2
	v_pack_b32_f16 v0, v1, v0
	s_waitcnt vmcnt(5)
	v_lshrrev_b32_e32 v1, 16, v30
	s_waitcnt vmcnt(4)
	v_mul_f16_sdwa v2, v12, v1 dst_sel:DWORD dst_unused:UNUSED_PAD src0_sel:WORD_1 src1_sel:DWORD
	v_mul_f16_sdwa v3, v12, v30 dst_sel:DWORD dst_unused:UNUSED_PAD src0_sel:WORD_1 src1_sel:DWORD
	v_fma_f16 v2, v12, v30, v2
	v_fma_f16 v1, v12, v1, -v3
	v_pack_b32_f16 v1, v2, v1
	v_add_u32_e32 v2, 0xe00, v14
	ds_write2_b32 v2, v0, v1 offset0:79 offset1:154
	s_waitcnt vmcnt(3)
	v_lshrrev_b32_e32 v0, 16, v19
	s_waitcnt vmcnt(2)
	v_mul_f16_sdwa v1, v31, v0 dst_sel:DWORD dst_unused:UNUSED_PAD src0_sel:WORD_1 src1_sel:DWORD
	v_mul_f16_sdwa v2, v31, v19 dst_sel:DWORD dst_unused:UNUSED_PAD src0_sel:WORD_1 src1_sel:DWORD
	v_fma_f16 v1, v31, v19, v1
	v_fma_f16 v0, v31, v0, -v2
	v_pack_b32_f16 v0, v1, v0
	s_waitcnt vmcnt(1)
	v_lshrrev_b32_e32 v1, 16, v32
	s_waitcnt vmcnt(0)
	v_mul_f16_sdwa v2, v33, v1 dst_sel:DWORD dst_unused:UNUSED_PAD src0_sel:WORD_1 src1_sel:DWORD
	v_mul_f16_sdwa v3, v33, v32 dst_sel:DWORD dst_unused:UNUSED_PAD src0_sel:WORD_1 src1_sel:DWORD
	v_fma_f16 v2, v33, v32, v2
	v_fma_f16 v1, v33, v1, -v3
	v_pack_b32_f16 v1, v2, v1
	v_add_u32_e32 v2, 0x1000, v14
	ds_write2_b32 v2, v0, v1 offset0:101 offset1:176
.LBB0_3:
	s_or_b64 exec, exec, s[8:9]
	s_load_dwordx2 s[8:9], s[4:5], 0x20
	s_load_dwordx2 s[2:3], s[4:5], 0x8
	v_mov_b32_e32 v0, 0
	s_waitcnt lgkmcnt(0)
	s_barrier
	s_waitcnt lgkmcnt(0)
                                        ; implicit-def: $vgpr17
                                        ; implicit-def: $vgpr11
                                        ; implicit-def: $vgpr9
                                        ; implicit-def: $vgpr7
                                        ; implicit-def: $vgpr5
                                        ; implicit-def: $vgpr3
                                        ; implicit-def: $vgpr13
                                        ; implicit-def: $vgpr15
                                        ; implicit-def: $vgpr43
	s_and_saveexec_b64 s[4:5], s[0:1]
	s_cbranch_execz .LBB0_5
; %bb.4:
	v_lshl_add_u32 v17, v16, 2, v51
	v_add_u32_e32 v2, 0x400, v17
	ds_read2_b32 v[0:1], v17 offset1:75
	ds_read2_b32 v[14:15], v17 offset0:150 offset1:225
	ds_read2_b32 v[12:13], v2 offset0:44 offset1:119
	v_add_u32_e32 v2, 0x600, v17
	v_add_u32_e32 v4, 0x800, v17
	;; [unrolled: 1-line block ×5, first 2 shown]
	ds_read2_b32 v[2:3], v2 offset0:66 offset1:141
	ds_read2_b32 v[4:5], v4 offset0:88 offset1:163
	;; [unrolled: 1-line block ×5, first 2 shown]
	ds_read_b32 v17, v17 offset:4800
	s_waitcnt lgkmcnt(7)
	v_alignbit_b32 v43, v14, v14, 16
.LBB0_5:
	s_or_b64 exec, exec, s[4:5]
	s_waitcnt lgkmcnt(0)
	v_pk_add_f16 v14, v1, v17 neg_lo:[0,1] neg_hi:[0,1]
	s_mov_b32 s26, 0xb5c8
	v_pk_add_f16 v19, v17, v1
	s_movk_i32 s10, 0x3b76
	v_mul_f16_sdwa v45, v14, s26 dst_sel:DWORD dst_unused:UNUSED_PAD src0_sel:WORD_1 src1_sel:DWORD
	v_fma_f16 v18, v19, s10, v45
	v_lshrrev_b32_e32 v34, 16, v19
	s_movk_i32 s11, 0x39e9
	v_mul_f16_e32 v49, 0xb964, v14
	v_add_f16_e32 v20, v18, v0
	v_fma_f16 v18, v34, s11, -v49
	s_mov_b32 s29, 0xb964
	v_add_f16_sdwa v22, v18, v0 dst_sel:DWORD dst_unused:UNUSED_PAD src0_sel:DWORD src1_sel:WORD_1
	v_pk_add_f16 v18, v11, v43 op_sel:[1,0] op_sel_hi:[0,1]
	v_pk_add_f16 v21, v43, v11 op_sel:[1,0] op_sel_hi:[0,1] neg_lo:[0,1] neg_hi:[0,1]
	v_lshrrev_b32_e32 v31, 16, v18
	v_mul_f16_sdwa v46, v21, s29 dst_sel:DWORD dst_unused:UNUSED_PAD src0_sel:WORD_1 src1_sel:DWORD
	v_fma_f16 v23, v31, s11, v46
	s_movk_i32 s14, 0x2de8
	v_mul_f16_e32 v53, 0xbbf7, v21
	v_add_f16_e32 v25, v23, v20
	v_fma_f16 v20, v18, s14, -v53
	v_add_f16_e32 v22, v20, v22
	v_pk_add_f16 v20, v15, v10 neg_lo:[0,1] neg_hi:[0,1]
	s_mov_b32 s28, 0xbb29
	v_pk_add_f16 v23, v10, v15
	s_movk_i32 s16, 0x3722
	v_mul_f16_sdwa v47, v20, s28 dst_sel:DWORD dst_unused:UNUSED_PAD src0_sel:WORD_1 src1_sel:DWORD
	v_fma_f16 v26, v23, s16, v47
	v_lshrrev_b32_e32 v38, 16, v23
	s_mov_b32 s17, 0xb8d2
	v_mul_f16_e32 v59, 0xba62, v20
	v_add_f16_e32 v25, v26, v25
	v_fma_f16 v26, v38, s17, -v59
	s_mov_b32 s27, 0xbbf7
	v_add_f16_e32 v26, v26, v22
	v_pk_add_f16 v22, v12, v9 neg_lo:[0,1] neg_hi:[0,1]
	v_pk_add_f16 v28, v9, v12
	v_mul_f16_sdwa v48, v22, s27 dst_sel:DWORD dst_unused:UNUSED_PAD src0_sel:WORD_1 src1_sel:DWORD
	v_fma_f16 v27, v28, s14, v48
	v_lshrrev_b32_e32 v39, 16, v28
	s_mov_b32 s21, 0xbbdd
	v_mul_f16_e32 v61, 0xb1e1, v22
	v_add_f16_e32 v25, v27, v25
	v_fma_f16 v27, v39, s21, -v61
	v_add_f16_e32 v26, v27, v26
	v_pk_add_f16 v27, v13, v8 neg_lo:[0,1] neg_hi:[0,1]
	s_mov_b32 s18, 0xbbb2
	v_pk_add_f16 v30, v8, v13
	s_mov_b32 s20, 0xb461
	v_mul_f16_sdwa v50, v27, s18 dst_sel:DWORD dst_unused:UNUSED_PAD src0_sel:WORD_1 src1_sel:DWORD
	v_fma_f16 v29, v30, s20, v50
	v_lshrrev_b32_e32 v40, 16, v30
	s_mov_b32 s22, 0xbacd
	v_mul_f16_e32 v63, 0x3836, v27
	v_add_f16_e32 v25, v29, v25
	v_fma_f16 v29, v40, s22, -v63
	s_mov_b32 s15, 0xba62
	v_add_f16_e32 v26, v29, v26
	v_pk_add_f16 v29, v2, v7 neg_lo:[0,1] neg_hi:[0,1]
	v_pk_add_f16 v33, v7, v2
	v_mul_f16_sdwa v58, v29, s15 dst_sel:DWORD dst_unused:UNUSED_PAD src0_sel:WORD_1 src1_sel:DWORD
	v_fma_f16 v32, v33, s17, v58
	v_lshrrev_b32_e32 v41, 16, v33
	v_mul_f16_e32 v64, 0x3bb2, v29
	v_add_f16_e32 v25, v32, v25
	v_fma_f16 v32, v41, s20, -v64
	v_add_f16_e32 v26, v32, v26
	v_pk_add_f16 v32, v3, v6 neg_lo:[0,1] neg_hi:[0,1]
	s_mov_b32 s23, 0xb836
	v_pk_add_f16 v36, v6, v3
	v_mul_f16_sdwa v60, v32, s23 dst_sel:DWORD dst_unused:UNUSED_PAD src0_sel:WORD_1 src1_sel:DWORD
	v_fma_f16 v35, v36, s22, v60
	v_lshrrev_b32_e32 v42, 16, v36
	v_mul_f16_e32 v65, 0x3b29, v32
	v_add_f16_e32 v25, v35, v25
	v_fma_f16 v35, v42, s16, -v65
	s_mov_b32 s4, 0x3b7639e9
	s_mov_b32 s19, 0xb1e1
	v_add_f16_e32 v55, v35, v26
	v_pk_add_f16 v37, v5, v4
	v_pk_add_f16 v35, v4, v5 neg_lo:[0,1] neg_hi:[0,1]
	s_mov_b32 s5, 0xb964b5c8
	s_mov_b32 s25, 0xbbf7b964
	v_mul_f16_sdwa v62, v35, s19 dst_sel:DWORD dst_unused:UNUSED_PAD src0_sel:WORD_1 src1_sel:DWORD
	v_pk_mul_f16 v57, v19, s4
	v_lshrrev_b32_e32 v44, 16, v37
	v_mul_f16_e32 v79, 0x35c8, v35
	s_mov_b32 s24, 0x2de839e9
	s_mov_b32 s30, 0x3722b8d2
	v_fma_f16 v26, v37, s21, v62
	v_pk_fma_f16 v66, v14, s5, v57 op_sel:[0,0,1] op_sel_hi:[1,1,0]
	v_pk_mul_f16 v75, v21, s25
	v_fma_f16 v56, v44, s10, -v79
	v_pk_fma_f16 v74, v14, s5, v57 op_sel:[0,0,1] op_sel_hi:[1,1,0] neg_lo:[1,0,0] neg_hi:[1,0,0]
	s_mov_b32 s31, 0xba62bb29
	s_mov_b32 s33, 0x2de8bbdd
	v_add_f16_e32 v26, v26, v25
	v_pk_fma_f16 v67, v18, s24, v75
	v_add_f16_sdwa v25, v66, v0 dst_sel:DWORD dst_unused:UNUSED_PAD src0_sel:WORD_1 src1_sel:DWORD
	v_pk_mul_f16 v76, v23, s30
	v_add_f16_e32 v56, v56, v55
	v_pk_fma_f16 v75, v18, s24, v75 neg_lo:[0,0,1] neg_hi:[0,0,1]
	v_add_f16_sdwa v55, v74, v0 dst_sel:DWORD dst_unused:UNUSED_PAD src0_sel:DWORD src1_sel:WORD_1
	s_mov_b32 s34, 0xb1e1bbf7
	s_mov_b32 s35, 0xb461bacd
	v_add_f16_sdwa v25, v67, v25 dst_sel:DWORD dst_unused:UNUSED_PAD src0_sel:WORD_1 src1_sel:DWORD
	v_pk_fma_f16 v68, v20, s31, v76 op_sel:[0,0,1] op_sel_hi:[1,1,0]
	v_pk_mul_f16 v77, v28, s33
	v_pk_fma_f16 v76, v20, s31, v76 op_sel:[0,0,1] op_sel_hi:[1,1,0] neg_lo:[1,0,0] neg_hi:[1,0,0]
	v_add_f16_e32 v55, v75, v55
	s_mov_b32 s36, 0x3836bbb2
	s_mov_b32 s37, 0xb8d2b461
	v_add_f16_sdwa v25, v68, v25 dst_sel:DWORD dst_unused:UNUSED_PAD src0_sel:WORD_1 src1_sel:DWORD
	v_pk_fma_f16 v69, v22, s34, v77 op_sel:[0,0,1] op_sel_hi:[1,1,0]
	v_pk_mul_f16 v78, v30, s35
	v_pk_fma_f16 v77, v22, s34, v77 op_sel:[0,0,1] op_sel_hi:[1,1,0] neg_lo:[1,0,0] neg_hi:[1,0,0]
	v_add_f16_e32 v55, v76, v55
	;; [unrolled: 7-line block ×4, first 2 shown]
	s_mov_b32 s42, 0x35c8b1e1
	v_add_f16_sdwa v25, v71, v25 dst_sel:DWORD dst_unused:UNUSED_PAD src0_sel:WORD_1 src1_sel:DWORD
	v_pk_fma_f16 v72, v32, s40, v81 op_sel:[0,0,1] op_sel_hi:[1,1,0]
	v_pk_mul_f16 v82, v37, s41
	v_pk_fma_f16 v81, v32, s40, v81 op_sel:[0,0,1] op_sel_hi:[1,1,0] neg_lo:[1,0,0] neg_hi:[1,0,0]
	v_add_f16_e32 v55, v80, v55
	v_add_f16_sdwa v25, v72, v25 dst_sel:DWORD dst_unused:UNUSED_PAD src0_sel:WORD_1 src1_sel:DWORD
	v_pk_fma_f16 v73, v35, s42, v82 op_sel:[0,0,1] op_sel_hi:[1,1,0]
	v_pk_fma_f16 v82, v35, s42, v82 op_sel:[0,0,1] op_sel_hi:[1,1,0] neg_lo:[1,0,0] neg_hi:[1,0,0]
	v_add_f16_e32 v55, v81, v55
	v_add_f16_sdwa v25, v73, v25 dst_sel:DWORD dst_unused:UNUSED_PAD src0_sel:WORD_1 src1_sel:DWORD
	s_movk_i32 s33, 0x3836
	s_movk_i32 s30, 0x3bb2
	;; [unrolled: 1-line block ×3, first 2 shown]
	v_add_f16_e32 v57, v82, v55
	s_movk_i32 s25, 0x35c8
	v_mul_lo_u16_e32 v55, 17, v52
	s_barrier
	s_and_saveexec_b64 s[4:5], s[0:1]
	s_cbranch_execz .LBB0_7
; %bb.6:
	v_alignbit_b32 v83, v43, v43, 16
	v_alignbit_b32 v43, v0, v0, 16
	v_pk_add_f16 v1, v1, v43 op_sel:[0,1] op_sel_hi:[1,0]
	v_pk_add_f16 v1, v83, v1
	v_pk_add_f16 v1, v15, v1
	v_mul_f16_e32 v15, 0xb836, v14
	v_pk_add_f16 v1, v12, v1
	v_pk_add_f16 v1, v13, v1
	v_fma_f16 v12, v34, s22, v15
	v_mul_f16_e32 v13, 0x3b29, v21
	v_add_f16_sdwa v12, v12, v0 dst_sel:DWORD dst_unused:UNUSED_PAD src0_sel:DWORD src1_sel:WORD_1
	v_fma_f16 v83, v18, s16, v13
	v_add_f16_e32 v12, v83, v12
	v_mul_f16_e32 v83, 0xbbf7, v20
	v_fma_f16 v84, v38, s14, v83
	v_add_f16_e32 v12, v84, v12
	v_mul_f16_e32 v84, 0x3a62, v22
	;; [unrolled: 3-line block ×6, first 2 shown]
	v_fma_f16 v89, v44, s20, v88
	v_add_f16_e32 v12, v89, v12
	v_mul_f16_sdwa v89, v14, s23 dst_sel:DWORD dst_unused:UNUSED_PAD src0_sel:WORD_1 src1_sel:DWORD
	v_fma_f16 v90, v19, s22, -v89
	v_mul_f16_sdwa v91, v21, s24 dst_sel:DWORD dst_unused:UNUSED_PAD src0_sel:WORD_1 src1_sel:DWORD
	v_add_f16_e32 v90, v90, v0
	v_fma_f16 v92, v31, s16, -v91
	v_add_f16_e32 v90, v92, v90
	v_mul_f16_sdwa v92, v20, s27 dst_sel:DWORD dst_unused:UNUSED_PAD src0_sel:WORD_1 src1_sel:DWORD
	v_fma_f16 v93, v23, s14, -v92
	s_movk_i32 s35, 0x3a62
	v_add_f16_e32 v90, v93, v90
	v_mul_f16_sdwa v93, v22, s35 dst_sel:DWORD dst_unused:UNUSED_PAD src0_sel:WORD_1 src1_sel:DWORD
	v_fma_f16 v94, v28, s17, -v93
	v_add_f16_e32 v90, v94, v90
	v_mul_f16_sdwa v94, v27, s26 dst_sel:DWORD dst_unused:UNUSED_PAD src0_sel:WORD_1 src1_sel:DWORD
	v_fma_f16 v95, v30, s10, -v94
	v_add_f16_e32 v90, v95, v90
	v_mul_f16_sdwa v95, v29, s19 dst_sel:DWORD dst_unused:UNUSED_PAD src0_sel:WORD_1 src1_sel:DWORD
	v_fma_f16 v96, v33, s21, -v95
	s_movk_i32 s31, 0x3964
	v_add_f16_e32 v90, v96, v90
	v_mul_f16_sdwa v96, v32, s31 dst_sel:DWORD dst_unused:UNUSED_PAD src0_sel:WORD_1 src1_sel:DWORD
	v_fma_f16 v97, v36, s11, -v96
	v_add_f16_e32 v90, v97, v90
	v_mul_f16_sdwa v97, v35, s18 dst_sel:DWORD dst_unused:UNUSED_PAD src0_sel:WORD_1 src1_sel:DWORD
	v_fma_f16 v98, v37, s20, -v97
	v_add_f16_e32 v90, v98, v90
	v_mul_f16_e32 v98, 0xba62, v14
	v_fma_f16 v99, v34, s17, v98
	v_mul_f16_e32 v100, 0x3bb2, v21
	v_add_f16_sdwa v99, v99, v0 dst_sel:DWORD dst_unused:UNUSED_PAD src0_sel:DWORD src1_sel:WORD_1
	v_fma_f16 v101, v18, s20, v100
	v_add_f16_e32 v99, v101, v99
	v_mul_f16_e32 v101, 0xb5c8, v20
	v_fma_f16 v102, v38, s10, v101
	v_add_f16_e32 v99, v102, v99
	v_mul_f16_e32 v102, 0xb836, v22
	;; [unrolled: 3-line block ×6, first 2 shown]
	v_fma_f16 v107, v44, s16, v106
	v_add_f16_e32 v99, v107, v99
	v_mul_f16_sdwa v107, v14, s15 dst_sel:DWORD dst_unused:UNUSED_PAD src0_sel:WORD_1 src1_sel:DWORD
	v_fma_f16 v108, v19, s17, -v107
	v_mul_f16_sdwa v109, v21, s30 dst_sel:DWORD dst_unused:UNUSED_PAD src0_sel:WORD_1 src1_sel:DWORD
	v_add_f16_e32 v108, v108, v0
	v_fma_f16 v110, v31, s20, -v109
	v_add_f16_e32 v108, v110, v108
	v_mul_f16_sdwa v110, v20, s26 dst_sel:DWORD dst_unused:UNUSED_PAD src0_sel:WORD_1 src1_sel:DWORD
	v_fma_f16 v111, v23, s10, -v110
	v_add_f16_e32 v108, v111, v108
	v_mul_f16_sdwa v111, v22, s23 dst_sel:DWORD dst_unused:UNUSED_PAD src0_sel:WORD_1 src1_sel:DWORD
	v_fma_f16 v112, v28, s22, -v111
	s_movk_i32 s34, 0x3bf7
	v_add_f16_e32 v108, v112, v108
	v_mul_f16_sdwa v112, v27, s34 dst_sel:DWORD dst_unused:UNUSED_PAD src0_sel:WORD_1 src1_sel:DWORD
	v_fma_f16 v113, v30, s14, -v112
	v_add_f16_e32 v108, v113, v108
	v_mul_f16_sdwa v113, v29, s29 dst_sel:DWORD dst_unused:UNUSED_PAD src0_sel:WORD_1 src1_sel:DWORD
	v_fma_f16 v114, v33, s11, -v113
	;; [unrolled: 3-line block ×4, first 2 shown]
	v_add_f16_e32 v108, v116, v108
	v_mul_f16_e32 v116, 0xbbb2, v14
	v_fma_f16 v117, v34, s20, v116
	v_mul_f16_e32 v118, 0x3836, v21
	v_add_f16_sdwa v117, v117, v0 dst_sel:DWORD dst_unused:UNUSED_PAD src0_sel:DWORD src1_sel:WORD_1
	v_fma_f16 v119, v18, s22, v118
	v_add_f16_e32 v117, v119, v117
	v_mul_f16_e32 v119, 0x3964, v20
	v_fma_f16 v120, v38, s11, v119
	v_add_f16_e32 v117, v120, v117
	v_mul_f16_e32 v120, 0xbb29, v22
	;; [unrolled: 3-line block ×6, first 2 shown]
	v_fma_f16 v125, v44, s17, v124
	v_add_f16_e32 v117, v125, v117
	v_mul_f16_sdwa v125, v14, s18 dst_sel:DWORD dst_unused:UNUSED_PAD src0_sel:WORD_1 src1_sel:DWORD
	v_fma_f16 v126, v19, s20, -v125
	v_mul_f16_sdwa v127, v21, s33 dst_sel:DWORD dst_unused:UNUSED_PAD src0_sel:WORD_1 src1_sel:DWORD
	v_add_f16_e32 v126, v126, v0
	v_fma_f16 v128, v31, s22, -v127
	v_add_f16_e32 v126, v128, v126
	v_mul_f16_sdwa v128, v20, s31 dst_sel:DWORD dst_unused:UNUSED_PAD src0_sel:WORD_1 src1_sel:DWORD
	v_fma_f16 v129, v23, s11, -v128
	v_add_f16_e32 v126, v129, v126
	v_mul_f16_sdwa v129, v22, s28 dst_sel:DWORD dst_unused:UNUSED_PAD src0_sel:WORD_1 src1_sel:DWORD
	;; [unrolled: 3-line block ×6, first 2 shown]
	v_fma_f16 v134, v37, s17, -v133
	v_add_f16_e32 v126, v134, v126
	v_mul_f16_e32 v134, 0xbbf7, v14
	v_fma_f16 v135, v34, s14, v134
	v_mul_f16_e32 v136, 0xb1e1, v21
	v_add_f16_sdwa v135, v135, v0 dst_sel:DWORD dst_unused:UNUSED_PAD src0_sel:DWORD src1_sel:WORD_1
	v_fma_f16 v137, v18, s21, v136
	v_add_f16_e32 v135, v137, v135
	v_mul_f16_e32 v137, 0x3bb2, v20
	v_fma_f16 v138, v38, s20, v137
	v_add_f16_e32 v135, v138, v135
	v_mul_f16_e32 v138, 0x35c8, v22
	;; [unrolled: 3-line block ×6, first 2 shown]
	v_fma_f16 v143, v44, s11, v142
	v_add_f16_e32 v135, v143, v135
	v_mul_f16_sdwa v143, v14, s27 dst_sel:DWORD dst_unused:UNUSED_PAD src0_sel:WORD_1 src1_sel:DWORD
	v_fma_f16 v144, v19, s14, -v143
	v_mul_f16_sdwa v145, v21, s19 dst_sel:DWORD dst_unused:UNUSED_PAD src0_sel:WORD_1 src1_sel:DWORD
	v_add_f16_e32 v144, v144, v0
	v_fma_f16 v146, v31, s21, -v145
	v_add_f16_e32 v144, v146, v144
	v_mul_f16_sdwa v146, v20, s30 dst_sel:DWORD dst_unused:UNUSED_PAD src0_sel:WORD_1 src1_sel:DWORD
	v_fma_f16 v147, v23, s20, -v146
	v_add_f16_e32 v144, v147, v144
	v_mul_f16_sdwa v147, v22, s25 dst_sel:DWORD dst_unused:UNUSED_PAD src0_sel:WORD_1 src1_sel:DWORD
	;; [unrolled: 3-line block ×6, first 2 shown]
	v_fma_f16 v152, v37, s11, -v151
	v_add_f16_e32 v144, v152, v144
	v_mul_f16_e32 v152, 0xbb29, v14
	v_fma_f16 v153, v34, s16, v152
	v_mul_f16_e32 v154, 0xba62, v21
	v_add_f16_sdwa v153, v153, v0 dst_sel:DWORD dst_unused:UNUSED_PAD src0_sel:DWORD src1_sel:WORD_1
	v_fma_f16 v155, v18, s17, v154
	v_add_f16_e32 v153, v155, v153
	v_mul_f16_e32 v155, 0x31e1, v20
	v_fma_f16 v156, v38, s21, v155
	v_add_f16_e32 v153, v156, v153
	v_mul_f16_e32 v156, 0x3bb2, v22
	;; [unrolled: 3-line block ×6, first 2 shown]
	v_fma_f16 v161, v44, s22, v160
	v_add_f16_e32 v153, v161, v153
	v_mul_f16_sdwa v161, v14, s28 dst_sel:DWORD dst_unused:UNUSED_PAD src0_sel:WORD_1 src1_sel:DWORD
	v_fma_f16 v162, v19, s16, -v161
	v_mul_f16_sdwa v163, v21, s15 dst_sel:DWORD dst_unused:UNUSED_PAD src0_sel:WORD_1 src1_sel:DWORD
	v_add_f16_e32 v162, v162, v0
	v_fma_f16 v164, v31, s17, -v163
	s_movk_i32 s28, 0x31e1
	v_add_f16_e32 v162, v164, v162
	v_mul_f16_sdwa v164, v20, s28 dst_sel:DWORD dst_unused:UNUSED_PAD src0_sel:WORD_1 src1_sel:DWORD
	v_fma_f16 v165, v23, s21, -v164
	v_add_f16_e32 v162, v165, v162
	v_mul_f16_sdwa v165, v22, s30 dst_sel:DWORD dst_unused:UNUSED_PAD src0_sel:WORD_1 src1_sel:DWORD
	v_fma_f16 v166, v28, s20, -v165
	;; [unrolled: 3-line block ×6, first 2 shown]
	v_add_f16_e32 v162, v170, v162
	v_mul_f16_e32 v170, 0x39e9, v34
	v_add_f16_e32 v49, v49, v170
	v_mul_f16_e32 v170, 0x2de8, v18
	v_add_f16_e32 v53, v53, v170
	v_add_f16_sdwa v49, v49, v0 dst_sel:DWORD dst_unused:UNUSED_PAD src0_sel:DWORD src1_sel:WORD_1
	v_add_f16_e32 v49, v53, v49
	v_mul_f16_e32 v53, 0xb8d2, v38
	v_add_f16_e32 v53, v59, v53
	v_add_f16_e32 v49, v53, v49
	v_mul_f16_e32 v53, 0xbbdd, v39
	s_mov_b32 s26, 0xffff
	v_add_f16_e32 v53, v61, v53
	v_bfi_b32 v61, s26, v68, v76
	v_mul_f16_e32 v68, 0x3b76, v19
	v_sub_f16_e32 v45, v68, v45
	v_mul_f16_e32 v68, 0x39e9, v31
	v_sub_f16_e32 v46, v68, v46
	v_add_f16_e32 v45, v45, v0
	v_add_f16_e32 v45, v46, v45
	v_mul_f16_e32 v46, 0x3722, v23
	v_sub_f16_e32 v46, v46, v47
	v_add_f16_e32 v45, v46, v45
	v_mul_f16_e32 v46, 0x2de8, v28
	v_sub_f16_e32 v46, v46, v48
	v_fma_f16 v15, v34, s22, -v15
	v_add_f16_e32 v45, v46, v45
	v_mul_f16_e32 v46, 0xb461, v30
	v_add_f16_sdwa v15, v15, v0 dst_sel:DWORD dst_unused:UNUSED_PAD src0_sel:DWORD src1_sel:WORD_1
	v_fma_f16 v13, v18, s16, -v13
	v_sub_f16_e32 v46, v46, v50
	v_add_f16_e32 v13, v13, v15
	v_fma_f16 v15, v38, s14, -v83
	v_add_f16_e32 v45, v46, v45
	v_mul_f16_e32 v46, 0xb8d2, v33
	v_add_f16_e32 v13, v15, v13
	v_fma_f16 v15, v39, s17, -v84
	v_sub_f16_e32 v46, v46, v58
	v_add_f16_e32 v13, v15, v13
	v_fma_f16 v15, v40, s10, -v85
	v_add_f16_e32 v45, v46, v45
	v_mul_f16_e32 v46, 0xbacd, v36
	v_add_f16_e32 v13, v15, v13
	;; [unrolled: 7-line block ×3, first 2 shown]
	v_fma_f16 v15, v44, s20, -v88
	v_sub_f16_e32 v46, v46, v62
	v_add_f16_e32 v13, v15, v13
	v_fma_f16 v15, v19, s22, v89
	v_add_f16_e32 v45, v46, v45
	v_add_f16_e32 v15, v15, v0
	v_fma_f16 v46, v31, s16, v91
	v_add_f16_e32 v15, v46, v15
	v_fma_f16 v46, v23, s14, v92
	v_add_f16_e32 v15, v46, v15
	v_fma_f16 v46, v28, s17, v93
	v_add_f16_e32 v15, v46, v15
	v_fma_f16 v46, v30, s10, v94
	v_add_f16_e32 v15, v46, v15
	v_fma_f16 v46, v33, s21, v95
	v_add_f16_e32 v15, v46, v15
	v_fma_f16 v46, v36, s11, v96
	v_add_f16_e32 v15, v46, v15
	v_fma_f16 v46, v37, s20, v97
	v_add_f16_e32 v15, v46, v15
	v_fma_f16 v46, v34, s17, -v98
	v_add_f16_sdwa v46, v46, v0 dst_sel:DWORD dst_unused:UNUSED_PAD src0_sel:DWORD src1_sel:WORD_1
	v_fma_f16 v47, v18, s20, -v100
	v_add_f16_e32 v46, v47, v46
	v_fma_f16 v47, v38, s10, -v101
	v_add_f16_e32 v46, v47, v46
	v_fma_f16 v47, v39, s22, -v102
	v_add_f16_e32 v46, v47, v46
	v_fma_f16 v47, v40, s14, -v103
	v_add_f16_e32 v46, v47, v46
	v_fma_f16 v47, v41, s11, -v104
	v_add_f16_e32 v46, v47, v46
	v_fma_f16 v47, v42, s21, -v105
	v_add_f16_e32 v46, v47, v46
	v_fma_f16 v47, v44, s16, -v106
	v_add_f16_e32 v46, v47, v46
	v_fma_f16 v47, v19, s17, v107
	v_add_f16_e32 v47, v47, v0
	v_fma_f16 v48, v31, s20, v109
	v_add_f16_e32 v47, v48, v47
	v_fma_f16 v48, v23, s10, v110
	v_add_f16_e32 v47, v48, v47
	v_fma_f16 v48, v28, s22, v111
	v_add_f16_e32 v47, v48, v47
	v_fma_f16 v48, v30, s14, v112
	v_add_f16_e32 v47, v48, v47
	v_fma_f16 v48, v33, s11, v113
	v_add_f16_e32 v47, v48, v47
	v_fma_f16 v48, v36, s21, v114
	v_add_f16_e32 v47, v48, v47
	v_fma_f16 v48, v37, s16, v115
	v_add_f16_e32 v47, v48, v47
	v_fma_f16 v48, v34, s20, -v116
	v_add_f16_sdwa v48, v48, v0 dst_sel:DWORD dst_unused:UNUSED_PAD src0_sel:DWORD src1_sel:WORD_1
	v_fma_f16 v50, v18, s22, -v118
	v_add_f16_e32 v48, v50, v48
	v_fma_f16 v50, v38, s11, -v119
	v_add_f16_e32 v48, v50, v48
	v_fma_f16 v50, v39, s16, -v120
	v_add_f16_e32 v48, v50, v48
	v_fma_f16 v50, v40, s21, -v121
	v_add_f16_e32 v48, v50, v48
	v_fma_f16 v50, v41, s14, -v122
	v_add_f16_e32 v48, v50, v48
	v_fma_f16 v50, v42, s10, -v123
	v_add_f16_e32 v48, v50, v48
	v_fma_f16 v50, v44, s17, -v124
	v_add_f16_e32 v48, v50, v48
	v_fma_f16 v50, v19, s20, v125
	;; [unrolled: 32-line block ×3, first 2 shown]
	v_add_f16_e32 v60, v60, v0
	v_fma_f16 v62, v31, s21, v145
	v_add_f16_e32 v60, v62, v60
	v_fma_f16 v62, v23, s20, v146
	;; [unrolled: 2-line block ×5, first 2 shown]
	v_add_f16_e32 v49, v53, v49
	v_mul_f16_e32 v53, 0xbacd, v40
	v_add_f16_e32 v60, v62, v60
	v_fma_f16 v62, v36, s17, v150
	v_add_f16_e32 v53, v63, v53
	v_add_f16_e32 v60, v62, v60
	v_fma_f16 v62, v37, s11, v151
	v_fma_f16 v34, v34, s16, -v152
	v_add_f16_e32 v49, v53, v49
	v_mul_f16_e32 v53, 0xb461, v41
	v_add_f16_e32 v60, v62, v60
	v_add_f16_sdwa v34, v34, v0 dst_sel:DWORD dst_unused:UNUSED_PAD src0_sel:DWORD src1_sel:WORD_1
	v_fma_f16 v62, v18, s17, -v154
	v_add_f16_e32 v53, v64, v53
	v_add_f16_e32 v34, v62, v34
	v_fma_f16 v38, v38, s21, -v155
	v_add_f16_e32 v49, v53, v49
	v_mul_f16_e32 v53, 0x3722, v42
	v_add_f16_e32 v34, v38, v34
	v_fma_f16 v38, v39, s20, -v156
	v_add_f16_e32 v53, v65, v53
	v_add_f16_e32 v34, v38, v34
	v_fma_f16 v38, v40, s11, -v157
	v_add_f16_e32 v49, v53, v49
	v_mul_f16_e32 v53, 0x3b76, v44
	v_add_f16_e32 v34, v38, v34
	v_fma_f16 v38, v41, s10, -v158
	v_add_f16_e32 v53, v79, v53
	v_add_f16_e32 v34, v38, v34
	v_fma_f16 v38, v42, s14, -v159
	v_add_f16_e32 v49, v53, v49
	v_bfi_b32 v53, s26, v66, v74
	v_add_f16_e32 v34, v38, v34
	v_fma_f16 v38, v44, s22, -v160
	v_bfi_b32 v59, s26, v67, v75
	v_add_f16_e32 v34, v38, v34
	v_fma_f16 v38, v19, s16, v161
	v_pk_add_f16 v1, v2, v1
	v_pk_add_f16 v2, v53, v43
	v_add_f16_e32 v0, v38, v0
	v_fma_f16 v31, v31, s17, v163
	v_pk_add_f16 v2, v59, v2
	v_bfi_b32 v63, s26, v69, v77
	v_add_f16_e32 v0, v31, v0
	v_fma_f16 v31, v23, s21, v164
	v_pk_add_f16 v1, v3, v1
	v_pk_add_f16 v2, v61, v2
	v_bfi_b32 v64, s26, v70, v78
	v_add_f16_e32 v0, v31, v0
	v_fma_f16 v31, v28, s20, v165
	v_pk_add_f16 v1, v4, v1
	;; [unrolled: 5-line block ×5, first 2 shown]
	v_pk_add_f16 v2, v66, v2
	v_add_f16_e32 v0, v31, v0
	v_fma_f16 v31, v37, s22, v169
	v_pk_add_f16 v1, v8, v1
	v_pk_add_f16 v2, v67, v2
	v_add_f16_e32 v0, v31, v0
	v_add_lshl_u32 v31, v16, v55, 2
	v_pk_add_f16 v1, v9, v1
	v_alignbit_b32 v3, v49, v2, 16
	v_pack_b32_f16 v2, v45, v2
	v_pk_add_f16 v1, v10, v1
	ds_write2_b32 v31, v2, v3 offset0:1 offset1:2
	v_pack_b32_f16 v2, v144, v135
	v_pack_b32_f16 v3, v162, v153
	v_pk_add_f16 v1, v11, v1
	ds_write2_b32 v31, v3, v2 offset0:3 offset1:4
	v_pack_b32_f16 v2, v108, v99
	;; [unrolled: 4-line block ×3, first 2 shown]
	ds_write2_b32 v31, v1, v2 offset1:7
	v_pk_mul_f16 v1, v19, s21 op_sel_hi:[1,0]
	v_pk_fma_f16 v2, v14, s19, v1 op_sel:[0,0,1] op_sel_hi:[1,0,0] neg_lo:[1,0,0] neg_hi:[1,0,0]
	v_pk_mul_f16 v3, v21, s25 op_sel_hi:[1,0]
	v_pk_add_f16 v2, v2, v43
	v_pk_fma_f16 v4, v18, s10, v3 op_sel_hi:[1,0,1] neg_lo:[0,0,1] neg_hi:[0,0,1]
	v_pk_add_f16 v2, v4, v2
	v_pk_mul_f16 v4, v23, s22 op_sel_hi:[1,0]
	v_pk_fma_f16 v5, v20, s23, v4 op_sel:[0,0,1] op_sel_hi:[1,0,0] neg_lo:[1,0,0] neg_hi:[1,0,0]
	v_pk_add_f16 v2, v5, v2
	v_pk_mul_f16 v5, v28, s11 op_sel_hi:[1,0]
	v_pk_fma_f16 v6, v22, s31, v5 op_sel:[0,0,1] op_sel_hi:[1,0,0] neg_lo:[1,0,0] neg_hi:[1,0,0]
	v_pk_add_f16 v2, v6, v2
	v_pk_mul_f16 v6, v30, s17 op_sel_hi:[1,0]
	v_pk_fma_f16 v1, v14, s19, v1 op_sel:[0,0,1] op_sel_hi:[1,0,0]
	v_pk_fma_f16 v7, v27, s15, v6 op_sel:[0,0,1] op_sel_hi:[1,0,0] neg_lo:[1,0,0] neg_hi:[1,0,0]
	v_pk_add_f16 v1, v1, v43
	v_pk_fma_f16 v3, v18, s10, v3 op_sel_hi:[1,0,1]
	v_pk_add_f16 v2, v7, v2
	v_pk_mul_f16 v7, v33, s16 op_sel_hi:[1,0]
	v_pk_add_f16 v1, v3, v1
	v_pk_fma_f16 v3, v20, s23, v4 op_sel:[0,0,1] op_sel_hi:[1,0,0]
	v_pk_fma_f16 v8, v29, s24, v7 op_sel:[0,0,1] op_sel_hi:[1,0,0] neg_lo:[1,0,0] neg_hi:[1,0,0]
	v_pk_add_f16 v1, v3, v1
	v_pk_fma_f16 v3, v22, s31, v5 op_sel:[0,0,1] op_sel_hi:[1,0,0]
	v_pk_add_f16 v2, v8, v2
	v_pk_mul_f16 v8, v36, s20 op_sel_hi:[1,0]
	v_pk_add_f16 v1, v3, v1
	v_pk_fma_f16 v3, v27, s15, v6 op_sel:[0,0,1] op_sel_hi:[1,0,0]
	v_pk_fma_f16 v9, v32, s18, v8 op_sel:[0,0,1] op_sel_hi:[1,0,0] neg_lo:[1,0,0] neg_hi:[1,0,0]
	v_pk_add_f16 v1, v3, v1
	v_pk_fma_f16 v3, v29, s24, v7 op_sel:[0,0,1] op_sel_hi:[1,0,0]
	;; [unrolled: 7-line block ×3, first 2 shown]
	v_pk_add_f16 v2, v10, v2
	v_pk_add_f16 v1, v3, v1
	v_alignbit_b32 v3, v2, v1, 16
	v_alignbit_b32 v1, v1, v2, 16
	ds_write2_b32 v31, v1, v3 offset0:8 offset1:9
	v_pack_b32_f16 v1, v47, v46
	v_pack_b32_f16 v2, v15, v13
	ds_write2_b32 v31, v2, v1 offset0:10 offset1:11
	v_pack_b32_f16 v1, v60, v58
	v_pack_b32_f16 v2, v50, v48
	s_mov_b32 s10, 0x5040100
	ds_write2_b32 v31, v2, v1 offset0:12 offset1:13
	v_pack_b32_f16 v0, v0, v34
	v_perm_b32 v1, v56, v25, s10
	ds_write2_b32 v31, v0, v1 offset0:14 offset1:15
	v_perm_b32 v0, v57, v26, s10
	ds_write_b32 v31, v0 offset:64
.LBB0_7:
	s_or_b64 exec, exec, s[4:5]
	v_add_co_u32_e32 v17, vcc, 0x55, v52
	s_movk_i32 s5, 0xf1
	v_mul_lo_u16_sdwa v2, v17, s5 dst_sel:DWORD dst_unused:UNUSED_PAD src0_sel:BYTE_0 src1_sel:DWORD
	s_movk_i32 s4, 0xaa
	v_lshrrev_b16_e32 v18, 12, v2
	v_mul_lo_u16_sdwa v0, v52, s5 dst_sel:DWORD dst_unused:UNUSED_PAD src0_sel:BYTE_0 src1_sel:DWORD
	v_mul_lo_u16_e32 v2, 17, v18
	v_add_co_u32_e32 v20, vcc, s4, v52
	v_lshrrev_b16_e32 v14, 12, v0
	v_sub_u16_e32 v19, v17, v2
	v_mul_lo_u16_sdwa v2, v20, s5 dst_sel:DWORD dst_unused:UNUSED_PAD src0_sel:BYTE_0 src1_sel:DWORD
	v_mul_lo_u16_e32 v0, 17, v14
	v_lshrrev_b16_e32 v21, 12, v2
	v_sub_u16_e32 v15, v52, v0
	v_mov_b32_e32 v0, 3
	v_mul_lo_u16_e32 v2, 17, v21
	v_lshlrev_b32_sdwa v1, v0, v15 dst_sel:DWORD dst_unused:UNUSED_PAD src0_sel:DWORD src1_sel:BYTE_0
	v_sub_u16_e32 v22, v20, v2
	s_load_dwordx4 s[8:11], s[8:9], 0x0
	s_waitcnt lgkmcnt(0)
	s_barrier
	global_load_dwordx2 v[29:30], v1, s[2:3]
	v_lshlrev_b32_sdwa v1, v0, v19 dst_sel:DWORD dst_unused:UNUSED_PAD src0_sel:DWORD src1_sel:BYTE_0
	s_movk_i32 s4, 0xff
	v_lshlrev_b32_sdwa v0, v0, v22 dst_sel:DWORD dst_unused:UNUSED_PAD src0_sel:DWORD src1_sel:BYTE_0
	global_load_dwordx2 v[27:28], v1, s[2:3]
	global_load_dwordx2 v[33:34], v0, s[2:3]
	v_add_co_u32_e32 v1, vcc, s4, v52
	s_mov_b32 s5, 0xf0f1
	v_mul_u32_u24_sdwa v0, v1, s5 dst_sel:DWORD dst_unused:UNUSED_PAD src0_sel:WORD_0 src1_sel:DWORD
	v_lshrrev_b32_e32 v23, 20, v0
	v_mul_lo_u16_e32 v0, 17, v23
	v_sub_u16_e32 v42, v1, v0
	v_lshlrev_b16_e32 v0, 1, v42
	s_movk_i32 s4, 0x154
	v_lshlrev_b32_e32 v0, 2, v0
	global_load_dwordx2 v[31:32], v0, s[2:3]
	v_add_co_u32_e32 v0, vcc, s4, v52
	v_mul_u32_u24_sdwa v1, v0, s5 dst_sel:DWORD dst_unused:UNUSED_PAD src0_sel:WORD_0 src1_sel:DWORD
	v_lshrrev_b32_e32 v43, 20, v1
	v_mul_lo_u16_e32 v1, 17, v43
	v_sub_u16_e32 v44, v0, v1
	v_lshlrev_b16_e32 v0, 1, v44
	v_lshlrev_b32_e32 v0, 2, v0
	global_load_dwordx2 v[35:36], v0, s[2:3]
	v_add_lshl_u32 v58, v16, v52, 2
	ds_read2_b32 v[0:1], v58 offset1:85
	v_add_u32_e32 v38, 0x400, v58
	v_add_u32_e32 v37, 0xc00, v58
	;; [unrolled: 1-line block ×3, first 2 shown]
	ds_read2_b32 v[2:3], v58 offset0:170 offset1:255
	v_add_u32_e32 v39, 0xe00, v58
	v_add_u32_e32 v41, 0x800, v58
	ds_read_b32 v45, v58 offset:4760
	ds_read2_b32 v[4:5], v38 offset0:84 offset1:169
	ds_read2_b32 v[6:7], v37 offset0:82 offset1:167
	;; [unrolled: 1-line block ×5, first 2 shown]
	s_waitcnt lgkmcnt(4)
	v_lshrrev_b32_e32 v53, 16, v5
	s_waitcnt lgkmcnt(3)
	v_lshrrev_b32_e32 v61, 16, v7
	;; [unrolled: 2-line block ×3, first 2 shown]
	v_lshrrev_b32_e32 v62, 16, v9
	s_waitcnt lgkmcnt(1)
	v_lshrrev_b32_e32 v63, 16, v10
	s_waitcnt lgkmcnt(0)
	v_lshrrev_b32_e32 v64, 16, v12
	v_lshrrev_b32_e32 v65, 16, v11
	;; [unrolled: 1-line block ×6, first 2 shown]
	s_movk_i32 s4, 0x3aee
	s_mov_b32 s5, 0xbaee
	v_lshrrev_b32_e32 v47, 16, v1
	v_lshrrev_b32_e32 v48, 16, v2
	;; [unrolled: 1-line block ×4, first 2 shown]
	v_mul_u32_u24_e32 v14, 51, v14
	v_add_u32_sdwa v14, v14, v15 dst_sel:DWORD dst_unused:UNUSED_PAD src0_sel:DWORD src1_sel:BYTE_0
	s_waitcnt vmcnt(0)
	s_barrier
	s_mov_b32 s15, 0xbb9c
	s_mov_b32 s16, 0xb8b4
	s_movk_i32 s14, 0x34f2
	v_mul_f16_sdwa v68, v53, v29 dst_sel:DWORD dst_unused:UNUSED_PAD src0_sel:DWORD src1_sel:WORD_1
	v_mul_f16_sdwa v69, v5, v29 dst_sel:DWORD dst_unused:UNUSED_PAD src0_sel:DWORD src1_sel:WORD_1
	v_fma_f16 v5, v5, v29, -v68
	v_mul_f16_sdwa v70, v59, v30 dst_sel:DWORD dst_unused:UNUSED_PAD src0_sel:DWORD src1_sel:WORD_1
	v_mul_f16_sdwa v72, v60, v27 dst_sel:DWORD dst_unused:UNUSED_PAD src0_sel:DWORD src1_sel:WORD_1
	v_fma_f16 v68, v8, v27, -v72
	v_mul_f16_sdwa v8, v8, v27 dst_sel:DWORD dst_unused:UNUSED_PAD src0_sel:DWORD src1_sel:WORD_1
	v_fma_f16 v8, v60, v27, v8
	v_mul_f16_sdwa v60, v61, v28 dst_sel:DWORD dst_unused:UNUSED_PAD src0_sel:DWORD src1_sel:WORD_1
	v_fma_f16 v60, v7, v28, -v60
	v_mul_f16_sdwa v7, v7, v28 dst_sel:DWORD dst_unused:UNUSED_PAD src0_sel:DWORD src1_sel:WORD_1
	v_fma_f16 v7, v61, v28, v7
	;; [unrolled: 4-line block ×6, first 2 shown]
	v_mul_f16_sdwa v65, v67, v35 dst_sel:DWORD dst_unused:UNUSED_PAD src0_sel:DWORD src1_sel:WORD_1
	v_fma_f16 v65, v13, v35, -v65
	v_mul_f16_sdwa v13, v13, v35 dst_sel:DWORD dst_unused:UNUSED_PAD src0_sel:DWORD src1_sel:WORD_1
	v_mul_f16_sdwa v71, v6, v30 dst_sel:DWORD dst_unused:UNUSED_PAD src0_sel:DWORD src1_sel:WORD_1
	v_fma_f16 v6, v6, v30, -v70
	v_fma_f16 v13, v67, v35, v13
	v_mul_f16_sdwa v67, v50, v36 dst_sel:DWORD dst_unused:UNUSED_PAD src0_sel:DWORD src1_sel:WORD_1
	v_fma_f16 v53, v53, v29, v69
	v_fma_f16 v59, v59, v30, v71
	v_fma_f16 v67, v45, v36, -v67
	v_mul_f16_sdwa v45, v45, v36 dst_sel:DWORD dst_unused:UNUSED_PAD src0_sel:DWORD src1_sel:WORD_1
	v_add_f16_e32 v69, v5, v6
	v_fma_f16 v45, v50, v36, v45
	v_add_f16_e32 v50, v0, v5
	v_fma_f16 v0, v69, -0.5, v0
	v_sub_f16_e32 v69, v53, v59
	v_fma_f16 v70, v69, s4, v0
	v_fma_f16 v0, v69, s5, v0
	v_add_f16_e32 v69, v46, v53
	v_add_f16_e32 v53, v53, v59
	v_fma_f16 v46, v53, -0.5, v46
	v_sub_f16_e32 v5, v5, v6
	v_add_f16_e32 v53, v68, v60
	v_add_f16_e32 v50, v50, v6
	v_fma_f16 v6, v5, s5, v46
	v_fma_f16 v5, v5, s4, v46
	v_add_f16_e32 v46, v1, v68
	v_fma_f16 v1, v53, -0.5, v1
	v_sub_f16_e32 v53, v8, v7
	v_fma_f16 v71, v53, s4, v1
	v_fma_f16 v1, v53, s5, v1
	v_add_f16_e32 v53, v47, v8
	v_add_f16_e32 v53, v53, v7
	v_add_f16_e32 v7, v8, v7
	v_add_f16_e32 v69, v69, v59
	v_fma_f16 v7, v7, -0.5, v47
	v_sub_f16_e32 v8, v68, v60
	v_add_f16_e32 v59, v61, v62
	v_fma_f16 v47, v8, s5, v7
	v_fma_f16 v7, v8, s4, v7
	v_add_f16_e32 v8, v2, v61
	v_fma_f16 v2, v59, -0.5, v2
	v_sub_f16_e32 v59, v9, v10
	v_fma_f16 v68, v59, s4, v2
	v_fma_f16 v2, v59, s5, v2
	v_add_f16_e32 v59, v48, v9
	v_add_f16_e32 v9, v9, v10
	;; [unrolled: 1-line block ×3, first 2 shown]
	v_fma_f16 v9, v9, -0.5, v48
	v_sub_f16_e32 v10, v61, v62
	v_add_f16_e32 v59, v63, v64
	v_fma_f16 v48, v10, s5, v9
	v_fma_f16 v9, v10, s4, v9
	v_add_f16_e32 v10, v3, v63
	v_fma_f16 v3, v59, -0.5, v3
	v_sub_f16_e32 v59, v12, v11
	v_fma_f16 v73, v59, s4, v3
	v_fma_f16 v3, v59, s5, v3
	v_add_f16_e32 v59, v49, v12
	v_add_f16_e32 v74, v59, v11
	;; [unrolled: 1-line block ×3, first 2 shown]
	v_fma_f16 v11, v11, -0.5, v49
	v_sub_f16_e32 v12, v63, v64
	v_add_f16_e32 v59, v65, v67
	v_fma_f16 v49, v12, s5, v11
	v_fma_f16 v11, v12, s4, v11
	v_add_f16_e32 v12, v4, v65
	v_fma_f16 v4, v59, -0.5, v4
	v_sub_f16_e32 v59, v13, v45
	v_add_f16_e32 v10, v10, v64
	v_fma_f16 v64, v59, s4, v4
	v_fma_f16 v4, v59, s5, v4
	v_add_f16_e32 v59, v66, v13
	v_add_f16_e32 v75, v59, v45
	v_add_lshl_u32 v59, v16, v14, 2
	v_pack_b32_f16 v0, v0, v5
	ds_write_b32 v59, v0 offset:136
	v_mul_u32_u24_e32 v0, 51, v18
	v_add_f16_e32 v46, v46, v60
	v_add_u32_sdwa v0, v0, v19 dst_sel:DWORD dst_unused:UNUSED_PAD src0_sel:DWORD src1_sel:BYTE_0
	v_pack_b32_f16 v14, v50, v69
	v_pack_b32_f16 v6, v70, v6
	v_add_lshl_u32 v60, v16, v0, 2
	v_pack_b32_f16 v0, v46, v53
	v_pack_b32_f16 v5, v71, v47
	ds_write2_b32 v59, v14, v6 offset1:17
	ds_write2_b32 v60, v0, v5 offset1:17
	v_pack_b32_f16 v0, v1, v7
	ds_write_b32 v60, v0 offset:136
	v_mul_u32_u24_e32 v0, 51, v21
	v_add_f16_e32 v8, v8, v62
	v_add_u32_sdwa v0, v0, v22 dst_sel:DWORD dst_unused:UNUSED_PAD src0_sel:DWORD src1_sel:BYTE_0
	v_add_lshl_u32 v61, v16, v0, 2
	v_pack_b32_f16 v0, v8, v72
	v_pack_b32_f16 v1, v68, v48
	ds_write2_b32 v61, v0, v1 offset1:17
	v_pack_b32_f16 v0, v2, v9
	ds_write_b32 v61, v0 offset:136
	v_mad_legacy_u16 v0, v23, 51, v42
	v_add_f16_e32 v13, v13, v45
	v_add_lshl_u32 v62, v16, v0, 2
	v_pack_b32_f16 v0, v10, v74
	v_pack_b32_f16 v1, v73, v49
	v_fma_f16 v13, v13, -0.5, v66
	v_sub_f16_e32 v45, v65, v67
	ds_write2_b32 v62, v0, v1 offset1:17
	v_pack_b32_f16 v0, v3, v11
	v_add_f16_e32 v12, v12, v67
	v_fma_f16 v65, v45, s5, v13
	ds_write_b32 v62, v0 offset:136
	v_mad_legacy_u16 v0, v43, 51, v44
	v_fma_f16 v13, v45, s4, v13
	v_add_lshl_u32 v63, v16, v0, 2
	v_pack_b32_f16 v0, v12, v75
	v_pack_b32_f16 v1, v64, v65
	ds_write2_b32 v63, v0, v1 offset1:17
	v_pack_b32_f16 v0, v4, v13
	s_movk_i32 s4, 0xffcd
	ds_write_b32 v63, v0 offset:136
	v_add_co_u32_e32 v0, vcc, s4, v52
	v_addc_co_u32_e64 v1, s[4:5], 0, -1, vcc
	v_cmp_gt_u16_e32 vcc, 51, v52
	v_cndmask_b32_e64 v13, v1, 0, vcc
	v_cndmask_b32_e32 v12, v0, v52, vcc
	v_lshlrev_b64 v[0:1], 4, v[12:13]
	v_mov_b32_e32 v2, s3
	v_add_co_u32_e32 v0, vcc, s2, v0
	v_addc_co_u32_e32 v1, vcc, v2, v1, vcc
	s_waitcnt lgkmcnt(0)
	s_barrier
	global_load_dwordx4 v[0:3], v[0:1], off offset:136
	s_movk_i32 s4, 0xa1
	v_mul_lo_u16_sdwa v4, v17, s4 dst_sel:DWORD dst_unused:UNUSED_PAD src0_sel:BYTE_0 src1_sel:DWORD
	v_lshrrev_b16_e32 v15, 13, v4
	v_mul_lo_u16_e32 v4, 51, v15
	v_sub_u16_e32 v23, v17, v4
	v_mov_b32_e32 v8, 4
	v_lshlrev_b32_sdwa v4, v8, v23 dst_sel:DWORD dst_unused:UNUSED_PAD src0_sel:DWORD src1_sel:BYTE_0
	global_load_dwordx4 v[4:7], v4, s[2:3] offset:136
	v_mul_lo_u16_sdwa v9, v20, s4 dst_sel:DWORD dst_unused:UNUSED_PAD src0_sel:BYTE_0 src1_sel:DWORD
	v_lshrrev_b16_e32 v50, 13, v9
	v_mul_lo_u16_e32 v9, 51, v50
	v_sub_u16_e32 v53, v20, v9
	v_lshlrev_b32_sdwa v8, v8, v53 dst_sel:DWORD dst_unused:UNUSED_PAD src0_sel:DWORD src1_sel:BYTE_0
	global_load_dwordx4 v[8:11], v8, s[2:3] offset:136
	ds_read2_b32 v[13:14], v58 offset1:85
	ds_read2_b32 v[18:19], v58 offset0:170 offset1:255
	ds_read2_b32 v[21:22], v40 offset0:126 offset1:211
	;; [unrolled: 1-line block ×5, first 2 shown]
	s_waitcnt lgkmcnt(4)
	v_lshrrev_b32_e32 v65, 16, v19
	s_waitcnt lgkmcnt(3)
	v_lshrrev_b32_e32 v66, 16, v21
	s_waitcnt lgkmcnt(2)
	v_lshrrev_b32_e32 v67, 16, v43
	s_waitcnt lgkmcnt(1)
	v_lshrrev_b32_e32 v68, 16, v44
	ds_read2_b32 v[48:49], v37 offset0:82 offset1:167
	s_waitcnt lgkmcnt(1)
	v_lshrrev_b32_e32 v70, 16, v46
	v_lshrrev_b32_e32 v71, 16, v22
	;; [unrolled: 1-line block ×4, first 2 shown]
	s_waitcnt lgkmcnt(0)
	v_lshrrev_b32_e32 v72, 16, v48
	ds_read_b32 v74, v58 offset:4760
	v_lshrrev_b32_e32 v77, 16, v42
	v_lshrrev_b32_e32 v78, 16, v49
	s_movk_i32 s5, 0x3b9c
	s_movk_i32 s4, 0x38b4
	s_waitcnt lgkmcnt(0)
	v_lshrrev_b32_e32 v79, 16, v74
	v_lshrrev_b32_e32 v64, 16, v13
	;; [unrolled: 1-line block ×4, first 2 shown]
	v_cmp_lt_u16_e32 vcc, 50, v52
	s_waitcnt vmcnt(0)
	s_barrier
	v_lshlrev_b32_e32 v20, 4, v20
	v_mul_f16_sdwa v80, v65, v0 dst_sel:DWORD dst_unused:UNUSED_PAD src0_sel:DWORD src1_sel:WORD_1
	v_fma_f16 v80, v19, v0, -v80
	v_mul_f16_sdwa v19, v19, v0 dst_sel:DWORD dst_unused:UNUSED_PAD src0_sel:DWORD src1_sel:WORD_1
	v_fma_f16 v19, v65, v0, v19
	v_mul_f16_sdwa v65, v66, v1 dst_sel:DWORD dst_unused:UNUSED_PAD src0_sel:DWORD src1_sel:WORD_1
	v_fma_f16 v65, v21, v1, -v65
	v_mul_f16_sdwa v21, v21, v1 dst_sel:DWORD dst_unused:UNUSED_PAD src0_sel:DWORD src1_sel:WORD_1
	v_fma_f16 v21, v66, v1, v21
	;; [unrolled: 4-line block ×10, first 2 shown]
	v_mul_f16_sdwa v77, v78, v10 dst_sel:DWORD dst_unused:UNUSED_PAD src0_sel:DWORD src1_sel:WORD_1
	v_add_f16_e32 v81, v65, v66
	v_fma_f16 v77, v49, v10, -v77
	v_mul_f16_sdwa v49, v49, v10 dst_sel:DWORD dst_unused:UNUSED_PAD src0_sel:DWORD src1_sel:WORD_1
	v_fma_f16 v81, v81, -0.5, v13
	v_sub_f16_e32 v82, v19, v44
	v_fma_f16 v49, v78, v10, v49
	v_mul_f16_sdwa v78, v79, v11 dst_sel:DWORD dst_unused:UNUSED_PAD src0_sel:DWORD src1_sel:WORD_1
	v_fma_f16 v83, v82, s5, v81
	v_sub_f16_e32 v84, v21, v43
	v_sub_f16_e32 v85, v80, v65
	;; [unrolled: 1-line block ×3, first 2 shown]
	v_fma_f16 v81, v82, s15, v81
	v_fma_f16 v78, v74, v11, -v78
	v_mul_f16_sdwa v74, v74, v11 dst_sel:DWORD dst_unused:UNUSED_PAD src0_sel:DWORD src1_sel:WORD_1
	v_fma_f16 v83, v84, s4, v83
	v_add_f16_e32 v85, v85, v86
	v_fma_f16 v81, v84, s16, v81
	v_fma_f16 v74, v79, v11, v74
	v_add_f16_e32 v79, v13, v80
	v_fma_f16 v83, v85, s14, v83
	v_fma_f16 v81, v85, s14, v81
	v_add_f16_e32 v85, v80, v67
	v_add_f16_e32 v79, v79, v65
	v_fma_f16 v13, v85, -0.5, v13
	v_add_f16_e32 v79, v79, v66
	v_fma_f16 v85, v84, s15, v13
	v_fma_f16 v13, v84, s5, v13
	v_add_f16_e32 v84, v21, v43
	v_add_f16_e32 v79, v79, v67
	v_sub_f16_e32 v86, v65, v80
	v_sub_f16_e32 v87, v66, v67
	v_fma_f16 v84, v84, -0.5, v64
	v_sub_f16_e32 v67, v80, v67
	v_fma_f16 v85, v82, s4, v85
	v_add_f16_e32 v86, v86, v87
	v_fma_f16 v13, v82, s16, v13
	v_fma_f16 v80, v67, s15, v84
	v_sub_f16_e32 v65, v65, v66
	v_fma_f16 v85, v86, s14, v85
	v_fma_f16 v13, v86, s14, v13
	;; [unrolled: 1-line block ×3, first 2 shown]
	v_sub_f16_e32 v80, v19, v21
	v_sub_f16_e32 v86, v44, v43
	v_fma_f16 v84, v67, s5, v84
	v_add_f16_e32 v82, v64, v19
	v_add_f16_e32 v80, v80, v86
	v_fma_f16 v84, v65, s4, v84
	v_add_f16_e32 v82, v82, v21
	v_fma_f16 v66, v80, s14, v66
	v_fma_f16 v80, v80, s14, v84
	v_add_f16_e32 v84, v19, v44
	v_add_f16_e32 v82, v82, v43
	v_fma_f16 v64, v84, -0.5, v64
	v_add_f16_e32 v82, v82, v44
	v_fma_f16 v84, v65, s5, v64
	v_sub_f16_e32 v19, v21, v19
	v_sub_f16_e32 v21, v43, v44
	v_add_f16_e32 v44, v70, v71
	v_fma_f16 v84, v67, s16, v84
	v_add_f16_e32 v19, v19, v21
	v_fma_f16 v43, v65, s15, v64
	v_fma_f16 v44, v44, -0.5, v14
	v_sub_f16_e32 v64, v46, v45
	v_fma_f16 v21, v19, s14, v84
	v_fma_f16 v43, v67, s4, v43
	;; [unrolled: 1-line block ×3, first 2 shown]
	v_sub_f16_e32 v67, v22, v48
	v_sub_f16_e32 v84, v68, v70
	;; [unrolled: 1-line block ×3, first 2 shown]
	v_fma_f16 v65, v67, s4, v65
	v_add_f16_e32 v84, v84, v86
	v_fma_f16 v86, v84, s14, v65
	v_add_f16_e32 v65, v68, v72
	v_fma_f16 v19, v19, s14, v43
	v_add_f16_e32 v43, v14, v68
	v_fma_f16 v14, v65, -0.5, v14
	v_fma_f16 v65, v67, s15, v14
	v_fma_f16 v14, v67, s5, v14
	;; [unrolled: 1-line block ×5, first 2 shown]
	v_add_f16_e32 v64, v69, v46
	v_fma_f16 v44, v67, s16, v44
	v_add_f16_e32 v64, v64, v22
	v_fma_f16 v44, v84, s14, v44
	v_sub_f16_e32 v84, v70, v68
	v_sub_f16_e32 v87, v71, v72
	v_add_f16_e32 v64, v64, v48
	v_add_f16_e32 v43, v43, v70
	;; [unrolled: 1-line block ×6, first 2 shown]
	v_fma_f16 v87, v84, s14, v65
	v_fma_f16 v64, v64, -0.5, v69
	v_sub_f16_e32 v65, v68, v72
	v_add_f16_e32 v43, v43, v72
	v_fma_f16 v68, v65, s15, v64
	v_sub_f16_e32 v70, v70, v71
	v_sub_f16_e32 v71, v46, v22
	;; [unrolled: 1-line block ×3, first 2 shown]
	v_fma_f16 v64, v65, s5, v64
	v_fma_f16 v68, v70, s16, v68
	v_add_f16_e32 v71, v71, v72
	v_fma_f16 v64, v70, s4, v64
	v_fma_f16 v68, v71, s14, v68
	;; [unrolled: 1-line block ×3, first 2 shown]
	v_add_f16_e32 v64, v46, v45
	v_fma_f16 v64, v64, -0.5, v69
	v_fma_f16 v69, v70, s5, v64
	v_sub_f16_e32 v22, v22, v46
	v_sub_f16_e32 v45, v48, v45
	v_add_f16_e32 v48, v76, v77
	v_fma_f16 v69, v65, s16, v69
	v_add_f16_e32 v22, v22, v45
	v_fma_f16 v46, v70, s15, v64
	v_fma_f16 v48, v48, -0.5, v18
	v_sub_f16_e32 v64, v47, v74
	v_fma_f16 v45, v22, s14, v69
	v_fma_f16 v46, v65, s4, v46
	;; [unrolled: 1-line block ×3, first 2 shown]
	v_sub_f16_e32 v69, v42, v49
	v_sub_f16_e32 v70, v73, v76
	;; [unrolled: 1-line block ×3, first 2 shown]
	v_fma_f16 v65, v69, s4, v65
	v_add_f16_e32 v70, v70, v72
	v_fma_f16 v72, v70, s14, v65
	v_add_f16_e32 v65, v73, v78
	;; [unrolled: 2-line block ×3, first 2 shown]
	v_fma_f16 v18, v65, -0.5, v18
	v_fma_f16 v65, v69, s15, v18
	v_fma_f16 v18, v69, s5, v18
	;; [unrolled: 1-line block ×5, first 2 shown]
	v_add_f16_e32 v64, v75, v47
	v_fma_f16 v48, v69, s16, v48
	v_add_f16_e32 v64, v64, v42
	v_fma_f16 v14, v84, s14, v14
	v_fma_f16 v48, v70, s14, v48
	v_sub_f16_e32 v70, v76, v73
	v_sub_f16_e32 v84, v77, v78
	v_add_f16_e32 v64, v64, v49
	v_add_f16_e32 v70, v70, v84
	;; [unrolled: 1-line block ×5, first 2 shown]
	v_fma_f16 v84, v70, s14, v65
	v_fma_f16 v64, v64, -0.5, v75
	v_sub_f16_e32 v65, v73, v78
	v_add_f16_e32 v46, v46, v77
	v_fma_f16 v18, v70, s14, v18
	v_fma_f16 v70, v65, s15, v64
	v_sub_f16_e32 v73, v76, v77
	v_sub_f16_e32 v76, v47, v42
	;; [unrolled: 1-line block ×3, first 2 shown]
	v_fma_f16 v64, v65, s5, v64
	v_fma_f16 v70, v73, s16, v70
	v_add_f16_e32 v76, v76, v77
	v_fma_f16 v64, v73, s4, v64
	v_fma_f16 v70, v76, s14, v70
	;; [unrolled: 1-line block ×3, first 2 shown]
	v_add_f16_e32 v64, v47, v74
	v_fma_f16 v64, v64, -0.5, v75
	v_fma_f16 v75, v73, s5, v64
	v_sub_f16_e32 v42, v42, v47
	v_sub_f16_e32 v47, v49, v74
	v_fma_f16 v49, v73, s15, v64
	v_fma_f16 v75, v65, s16, v75
	v_add_f16_e32 v42, v42, v47
	v_fma_f16 v49, v65, s4, v49
	v_fma_f16 v47, v42, s14, v75
	;; [unrolled: 1-line block ×3, first 2 shown]
	v_mov_b32_e32 v49, 0xff
	v_cndmask_b32_e32 v49, 0, v49, vcc
	v_add_u32_e32 v12, v12, v49
	v_add_lshl_u32 v64, v16, v12, 2
	v_pack_b32_f16 v12, v79, v82
	v_pack_b32_f16 v49, v83, v66
	ds_write2_b32 v64, v12, v49 offset1:51
	v_pack_b32_f16 v12, v85, v21
	v_pack_b32_f16 v13, v13, v19
	ds_write2_b32 v64, v12, v13 offset0:102 offset1:153
	v_pack_b32_f16 v12, v81, v80
	ds_write_b32 v64, v12 offset:816
	v_mul_u32_u24_e32 v12, 0xff, v15
	v_add_u32_sdwa v12, v12, v23 dst_sel:DWORD dst_unused:UNUSED_PAD src0_sel:DWORD src1_sel:BYTE_0
	v_add_lshl_u32 v65, v16, v12, 2
	v_pack_b32_f16 v12, v43, v67
	v_pack_b32_f16 v13, v86, v68
	ds_write2_b32 v65, v12, v13 offset1:51
	v_pack_b32_f16 v12, v87, v45
	v_pack_b32_f16 v13, v14, v22
	ds_write2_b32 v65, v12, v13 offset0:102 offset1:153
	v_pack_b32_f16 v12, v44, v71
	ds_write_b32 v65, v12 offset:816
	v_mul_u32_u24_e32 v12, 0xff, v50
	v_add_f16_e32 v46, v46, v78
	v_add_u32_sdwa v12, v12, v53 dst_sel:DWORD dst_unused:UNUSED_PAD src0_sel:DWORD src1_sel:BYTE_0
	v_add_lshl_u32 v66, v16, v12, 2
	v_pack_b32_f16 v12, v46, v69
	v_pack_b32_f16 v13, v72, v70
	ds_write2_b32 v66, v12, v13 offset1:51
	v_pack_b32_f16 v12, v84, v47
	v_pack_b32_f16 v13, v18, v42
	ds_write2_b32 v66, v12, v13 offset0:102 offset1:153
	v_pack_b32_f16 v12, v48, v76
	ds_write_b32 v66, v12 offset:816
	v_lshlrev_b32_e32 v12, 4, v52
	s_waitcnt lgkmcnt(0)
	s_barrier
	global_load_dwordx4 v[12:15], v12, s[2:3] offset:952
	v_lshlrev_b32_e32 v16, 4, v17
	global_load_dwordx4 v[16:19], v16, s[2:3] offset:952
	s_nop 0
	global_load_dwordx4 v[20:23], v20, s[2:3] offset:952
	ds_read2_b32 v[43:44], v58 offset1:85
	ds_read2_b32 v[48:49], v58 offset0:170 offset1:255
	ds_read2_b32 v[45:46], v40 offset0:126 offset1:211
	;; [unrolled: 1-line block ×5, first 2 shown]
	s_waitcnt lgkmcnt(4)
	v_lshrrev_b32_e32 v47, 16, v49
	s_waitcnt lgkmcnt(3)
	v_lshrrev_b32_e32 v50, 16, v45
	;; [unrolled: 2-line block ×3, first 2 shown]
	ds_read2_b32 v[69:70], v37 offset0:82 offset1:167
	s_waitcnt lgkmcnt(2)
	v_lshrrev_b32_e32 v37, 16, v67
	s_waitcnt lgkmcnt(1)
	v_lshrrev_b32_e32 v71, 16, v38
	v_lshrrev_b32_e32 v72, 16, v46
	;; [unrolled: 1-line block ×3, first 2 shown]
	s_waitcnt lgkmcnt(0)
	v_lshrrev_b32_e32 v73, 16, v69
	v_lshrrev_b32_e32 v76, 16, v39
	ds_read_b32 v75, v58 offset:4760
	v_lshrrev_b32_e32 v77, 16, v40
	v_lshrrev_b32_e32 v78, 16, v70
	;; [unrolled: 1-line block ×4, first 2 shown]
	s_waitcnt lgkmcnt(0)
	v_lshrrev_b32_e32 v80, 16, v75
	v_lshrrev_b32_e32 v84, 16, v48
	s_waitcnt vmcnt(2)
	v_mul_f16_sdwa v81, v47, v12 dst_sel:DWORD dst_unused:UNUSED_PAD src0_sel:DWORD src1_sel:WORD_1
	v_fma_f16 v81, v49, v12, -v81
	v_mul_f16_sdwa v49, v49, v12 dst_sel:DWORD dst_unused:UNUSED_PAD src0_sel:DWORD src1_sel:WORD_1
	v_fma_f16 v47, v47, v12, v49
	v_mul_f16_sdwa v49, v50, v13 dst_sel:DWORD dst_unused:UNUSED_PAD src0_sel:DWORD src1_sel:WORD_1
	v_fma_f16 v49, v45, v13, -v49
	v_mul_f16_sdwa v45, v45, v13 dst_sel:DWORD dst_unused:UNUSED_PAD src0_sel:DWORD src1_sel:WORD_1
	v_fma_f16 v45, v50, v13, v45
	v_mul_f16_sdwa v50, v53, v14 dst_sel:DWORD dst_unused:UNUSED_PAD src0_sel:DWORD src1_sel:WORD_1
	v_fma_f16 v50, v41, v14, -v50
	v_mul_f16_sdwa v41, v41, v14 dst_sel:DWORD dst_unused:UNUSED_PAD src0_sel:DWORD src1_sel:WORD_1
	v_fma_f16 v41, v53, v14, v41
	v_mul_f16_sdwa v53, v37, v15 dst_sel:DWORD dst_unused:UNUSED_PAD src0_sel:DWORD src1_sel:WORD_1
	v_fma_f16 v53, v67, v15, -v53
	v_mul_f16_sdwa v67, v67, v15 dst_sel:DWORD dst_unused:UNUSED_PAD src0_sel:DWORD src1_sel:WORD_1
	v_fma_f16 v67, v37, v15, v67
	s_waitcnt vmcnt(1)
	v_mul_f16_sdwa v37, v71, v16 dst_sel:DWORD dst_unused:UNUSED_PAD src0_sel:DWORD src1_sel:WORD_1
	v_fma_f16 v82, v38, v16, -v37
	v_mul_f16_sdwa v37, v38, v16 dst_sel:DWORD dst_unused:UNUSED_PAD src0_sel:DWORD src1_sel:WORD_1
	v_fma_f16 v83, v71, v16, v37
	v_mul_f16_sdwa v37, v72, v17 dst_sel:DWORD dst_unused:UNUSED_PAD src0_sel:DWORD src1_sel:WORD_1
	v_fma_f16 v85, v46, v17, -v37
	v_mul_f16_sdwa v37, v46, v17 dst_sel:DWORD dst_unused:UNUSED_PAD src0_sel:DWORD src1_sel:WORD_1
	v_fma_f16 v86, v72, v17, v37
	v_mul_f16_sdwa v37, v73, v18 dst_sel:DWORD dst_unused:UNUSED_PAD src0_sel:DWORD src1_sel:WORD_1
	v_fma_f16 v87, v69, v18, -v37
	v_mul_f16_sdwa v37, v69, v18 dst_sel:DWORD dst_unused:UNUSED_PAD src0_sel:DWORD src1_sel:WORD_1
	v_fma_f16 v69, v73, v18, v37
	v_mul_f16_sdwa v37, v74, v19 dst_sel:DWORD dst_unused:UNUSED_PAD src0_sel:DWORD src1_sel:WORD_1
	v_fma_f16 v88, v68, v19, -v37
	v_mul_f16_sdwa v37, v68, v19 dst_sel:DWORD dst_unused:UNUSED_PAD src0_sel:DWORD src1_sel:WORD_1
	v_fma_f16 v68, v74, v19, v37
	;; [unrolled: 17-line block ×3, first 2 shown]
	v_add_f16_e32 v37, v43, v81
	v_add_f16_e32 v37, v37, v49
	v_add_f16_e32 v37, v37, v50
	v_add_f16_e32 v70, v37, v53
	v_add_f16_e32 v37, v49, v50
	v_fma_f16 v38, v37, -0.5, v43
	v_sub_f16_e32 v39, v47, v67
	v_fma_f16 v37, v39, s5, v38
	v_sub_f16_e32 v46, v45, v41
	v_sub_f16_e32 v40, v81, v49
	;; [unrolled: 1-line block ×3, first 2 shown]
	v_fma_f16 v38, v39, s15, v38
	v_fma_f16 v37, v46, s4, v37
	v_add_f16_e32 v40, v40, v71
	v_fma_f16 v38, v46, s16, v38
	v_fma_f16 v37, v40, s14, v37
	;; [unrolled: 1-line block ×3, first 2 shown]
	v_add_f16_e32 v38, v81, v53
	v_fma_f16 v43, v38, -0.5, v43
	v_fma_f16 v38, v46, s15, v43
	v_fma_f16 v43, v46, s5, v43
	;; [unrolled: 1-line block ×4, first 2 shown]
	v_add_f16_e32 v43, v42, v47
	v_sub_f16_e32 v71, v49, v81
	v_sub_f16_e32 v72, v50, v53
	v_add_f16_e32 v43, v43, v45
	v_add_f16_e32 v71, v71, v72
	;; [unrolled: 1-line block ×3, first 2 shown]
	v_fma_f16 v38, v71, s14, v38
	v_fma_f16 v39, v71, s14, v39
	v_add_f16_e32 v71, v43, v67
	v_add_f16_e32 v43, v45, v41
	v_fma_f16 v43, v43, -0.5, v42
	v_sub_f16_e32 v46, v81, v53
	v_fma_f16 v53, v46, s15, v43
	v_sub_f16_e32 v49, v49, v50
	v_fma_f16 v50, v49, s16, v53
	v_sub_f16_e32 v53, v47, v45
	v_sub_f16_e32 v72, v67, v41
	v_fma_f16 v43, v46, s5, v43
	v_add_f16_e32 v53, v53, v72
	v_fma_f16 v43, v49, s4, v43
	v_fma_f16 v75, v53, s14, v43
	v_add_f16_e32 v43, v47, v67
	v_fma_f16 v42, v43, -0.5, v42
	v_fma_f16 v43, v49, s5, v42
	v_sub_f16_e32 v45, v45, v47
	v_sub_f16_e32 v41, v41, v67
	v_fma_f16 v42, v49, s15, v42
	v_add_f16_e32 v41, v45, v41
	v_fma_f16 v42, v46, s4, v42
	v_fma_f16 v43, v46, s16, v43
	;; [unrolled: 1-line block ×3, first 2 shown]
	v_add_f16_e32 v42, v85, v87
	v_fma_f16 v73, v41, s14, v43
	v_fma_f16 v43, v42, -0.5, v44
	v_sub_f16_e32 v46, v83, v68
	v_fma_f16 v42, v46, s5, v43
	v_sub_f16_e32 v47, v86, v69
	v_sub_f16_e32 v45, v82, v85
	;; [unrolled: 1-line block ×3, first 2 shown]
	v_fma_f16 v43, v46, s15, v43
	v_fma_f16 v42, v47, s4, v42
	v_add_f16_e32 v45, v45, v49
	v_fma_f16 v43, v47, s16, v43
	v_fma_f16 v42, v45, s14, v42
	;; [unrolled: 1-line block ×3, first 2 shown]
	v_add_f16_e32 v45, v82, v88
	v_add_f16_e32 v41, v44, v82
	v_fma_f16 v44, v45, -0.5, v44
	v_fma_f16 v72, v53, s14, v50
	v_fma_f16 v45, v47, s15, v44
	v_sub_f16_e32 v49, v85, v82
	v_sub_f16_e32 v50, v87, v88
	v_fma_f16 v44, v47, s5, v44
	v_add_f16_e32 v49, v49, v50
	v_fma_f16 v44, v46, s16, v44
	v_fma_f16 v45, v46, s4, v45
	;; [unrolled: 1-line block ×3, first 2 shown]
	v_add_f16_e32 v44, v79, v83
	v_add_f16_e32 v44, v44, v86
	v_add_f16_e32 v44, v44, v69
	v_add_f16_e32 v76, v44, v68
	v_add_f16_e32 v44, v86, v69
	v_fma_f16 v44, v44, -0.5, v79
	v_sub_f16_e32 v47, v82, v88
	v_fma_f16 v45, v49, s14, v45
	v_fma_f16 v49, v47, s15, v44
	v_sub_f16_e32 v50, v85, v87
	v_sub_f16_e32 v53, v83, v86
	;; [unrolled: 1-line block ×3, first 2 shown]
	v_fma_f16 v44, v47, s5, v44
	v_add_f16_e32 v53, v53, v67
	v_fma_f16 v44, v50, s4, v44
	v_fma_f16 v78, v53, s14, v44
	v_add_f16_e32 v44, v83, v68
	v_fma_f16 v49, v50, s16, v49
	v_fma_f16 v44, v44, -0.5, v79
	v_fma_f16 v77, v53, s14, v49
	v_fma_f16 v49, v50, s5, v44
	v_sub_f16_e32 v53, v86, v83
	v_sub_f16_e32 v67, v69, v68
	v_fma_f16 v44, v50, s15, v44
	v_fma_f16 v49, v47, s16, v49
	v_add_f16_e32 v53, v53, v67
	v_fma_f16 v44, v47, s4, v44
	v_add_f16_e32 v47, v91, v93
	v_fma_f16 v79, v53, s14, v49
	v_fma_f16 v80, v53, s14, v44
	v_fma_f16 v49, v47, -0.5, v48
	v_sub_f16_e32 v53, v90, v96
	v_fma_f16 v47, v53, s5, v49
	v_sub_f16_e32 v67, v92, v94
	v_sub_f16_e32 v50, v89, v91
	;; [unrolled: 1-line block ×3, first 2 shown]
	v_fma_f16 v49, v53, s15, v49
	v_fma_f16 v47, v67, s4, v47
	v_add_f16_e32 v50, v50, v68
	v_fma_f16 v49, v67, s16, v49
	v_fma_f16 v47, v50, s14, v47
	;; [unrolled: 1-line block ×3, first 2 shown]
	v_add_f16_e32 v49, v89, v95
	v_fma_f16 v49, v49, -0.5, v48
	v_add_f16_e32 v44, v48, v89
	v_fma_f16 v48, v67, s15, v49
	v_fma_f16 v49, v67, s5, v49
	v_fma_f16 v48, v53, s4, v48
	v_fma_f16 v49, v53, s16, v49
	v_add_f16_e32 v53, v84, v90
	v_add_f16_e32 v53, v53, v92
	;; [unrolled: 1-line block ×3, first 2 shown]
	v_sub_f16_e32 v68, v91, v89
	v_sub_f16_e32 v69, v93, v95
	v_add_f16_e32 v81, v53, v96
	v_add_f16_e32 v53, v92, v94
	;; [unrolled: 1-line block ×3, first 2 shown]
	v_fma_f16 v53, v53, -0.5, v84
	v_sub_f16_e32 v67, v89, v95
	v_fma_f16 v48, v68, s14, v48
	v_fma_f16 v49, v68, s14, v49
	;; [unrolled: 1-line block ×3, first 2 shown]
	v_sub_f16_e32 v69, v91, v93
	v_sub_f16_e32 v82, v90, v92
	;; [unrolled: 1-line block ×3, first 2 shown]
	v_fma_f16 v53, v67, s5, v53
	v_fma_f16 v68, v69, s16, v68
	v_add_f16_e32 v83, v82, v83
	v_fma_f16 v53, v69, s4, v53
	v_fma_f16 v82, v83, s14, v68
	v_fma_f16 v83, v83, s14, v53
	v_add_f16_e32 v53, v90, v96
	v_fma_f16 v53, v53, -0.5, v84
	v_add_f16_e32 v41, v41, v85
	v_fma_f16 v68, v69, s5, v53
	v_sub_f16_e32 v84, v92, v90
	v_sub_f16_e32 v85, v94, v96
	v_fma_f16 v53, v69, s15, v53
	v_fma_f16 v68, v67, s16, v68
	v_add_f16_e32 v85, v84, v85
	v_fma_f16 v53, v67, s4, v53
	v_fma_f16 v84, v85, s14, v68
	;; [unrolled: 1-line block ×3, first 2 shown]
	v_lshl_add_u32 v67, v52, 2, v54
	v_pack_b32_f16 v53, v70, v71
	v_add_f16_e32 v44, v44, v91
	ds_write_b32 v67, v53
	v_lshl_add_u32 v53, v52, 2, v54
	v_add_f16_e32 v41, v41, v87
	v_add_f16_e32 v44, v44, v93
	v_pack_b32_f16 v68, v37, v72
	v_pack_b32_f16 v90, v42, v77
	v_add_u32_e32 v87, 0x200, v53
	v_add_f16_e32 v41, v41, v88
	v_add_f16_e32 v44, v44, v95
	v_pack_b32_f16 v86, v39, v74
	ds_write2_b32 v87, v68, v90 offset0:127 offset1:212
	v_pack_b32_f16 v90, v46, v80
	v_add_u32_e32 v91, 0xa00, v53
	v_pack_b32_f16 v88, v41, v76
	ds_write2_b32 v91, v86, v90 offset0:125 offset1:210
	v_pack_b32_f16 v86, v44, v81
	v_pack_b32_f16 v69, v38, v73
	ds_write2_b32 v53, v88, v86 offset0:85 offset1:170
	v_pack_b32_f16 v86, v47, v82
	v_add_u32_e32 v88, 0x400, v53
	v_pack_b32_f16 v68, v45, v79
	ds_write2_b32 v88, v86, v69 offset0:169 offset1:254
	v_pack_b32_f16 v69, v48, v84
	v_add_u32_e32 v86, 0x800, v53
	;; [unrolled: 4-line block ×4, first 2 shown]
	ds_write2_b32 v68, v90, v89 offset0:81 offset1:166
	s_waitcnt lgkmcnt(0)
	s_barrier
	s_and_saveexec_b64 s[2:3], s[0:1]
	s_cbranch_execz .LBB0_9
; %bb.8:
	v_mov_b32_e32 v89, s7
	v_add_co_u32_e32 v93, vcc, s6, v51
	v_addc_co_u32_e32 v94, vcc, 0, v89, vcc
	v_add_co_u32_e32 v89, vcc, 0x13ec, v93
	v_addc_co_u32_e32 v90, vcc, 0, v94, vcc
	v_add_co_u32_e32 v91, vcc, 0x1000, v93
	v_addc_co_u32_e32 v92, vcc, 0, v94, vcc
	global_load_dword v95, v[91:92], off offset:1004
	global_load_dword v99, v[89:90], off offset:300
	;; [unrolled: 1-line block ×11, first 2 shown]
	s_movk_i32 s4, 0x2000
	v_add_co_u32_e32 v91, vcc, s4, v93
	ds_read_b32 v96, v67
	v_addc_co_u32_e32 v92, vcc, 0, v94, vcc
	global_load_dword v109, v[89:90], off offset:3300
	global_load_dword v110, v[89:90], off offset:3600
	;; [unrolled: 1-line block ×6, first 2 shown]
	s_waitcnt lgkmcnt(0)
	v_lshrrev_b32_e32 v89, 16, v96
	s_waitcnt vmcnt(16)
	v_mul_f16_sdwa v90, v89, v95 dst_sel:DWORD dst_unused:UNUSED_PAD src0_sel:DWORD src1_sel:WORD_1
	v_mul_f16_sdwa v91, v96, v95 dst_sel:DWORD dst_unused:UNUSED_PAD src0_sel:DWORD src1_sel:WORD_1
	v_fma_f16 v90, v96, v95, -v90
	v_fma_f16 v89, v89, v95, v91
	v_pack_b32_f16 v89, v90, v89
	ds_write_b32 v67, v89
	ds_read2_b32 v[89:90], v53 offset0:75 offset1:150
	ds_read2_b32 v[91:92], v87 offset0:97 offset1:172
	;; [unrolled: 1-line block ×5, first 2 shown]
	s_waitcnt lgkmcnt(4)
	v_lshrrev_b32_e32 v115, 16, v89
	s_waitcnt vmcnt(15)
	v_mul_f16_sdwa v116, v89, v99 dst_sel:DWORD dst_unused:UNUSED_PAD src0_sel:DWORD src1_sel:WORD_1
	v_lshrrev_b32_e32 v117, 16, v90
	s_waitcnt vmcnt(14)
	v_mul_f16_sdwa v118, v90, v100 dst_sel:DWORD dst_unused:UNUSED_PAD src0_sel:DWORD src1_sel:WORD_1
	s_waitcnt lgkmcnt(3)
	v_lshrrev_b32_e32 v119, 16, v91
	s_waitcnt vmcnt(13)
	v_mul_f16_sdwa v120, v91, v101 dst_sel:DWORD dst_unused:UNUSED_PAD src0_sel:DWORD src1_sel:WORD_1
	v_lshrrev_b32_e32 v121, 16, v92
	s_waitcnt vmcnt(12)
	v_mul_f16_sdwa v122, v92, v102 dst_sel:DWORD dst_unused:UNUSED_PAD src0_sel:DWORD src1_sel:WORD_1
	s_waitcnt lgkmcnt(2)
	v_lshrrev_b32_e32 v123, 16, v93
	s_waitcnt vmcnt(11)
	v_mul_f16_sdwa v124, v93, v103 dst_sel:DWORD dst_unused:UNUSED_PAD src0_sel:DWORD src1_sel:WORD_1
	v_lshrrev_b32_e32 v125, 16, v94
	v_mul_f16_sdwa v130, v115, v99 dst_sel:DWORD dst_unused:UNUSED_PAD src0_sel:DWORD src1_sel:WORD_1
	v_fma_f16 v115, v115, v99, v116
	v_mul_f16_sdwa v116, v117, v100 dst_sel:DWORD dst_unused:UNUSED_PAD src0_sel:DWORD src1_sel:WORD_1
	s_waitcnt vmcnt(10)
	v_mul_f16_sdwa v126, v94, v104 dst_sel:DWORD dst_unused:UNUSED_PAD src0_sel:DWORD src1_sel:WORD_1
	v_fma_f16 v117, v117, v100, v118
	v_mul_f16_sdwa v118, v119, v101 dst_sel:DWORD dst_unused:UNUSED_PAD src0_sel:DWORD src1_sel:WORD_1
	v_fma_f16 v119, v119, v101, v120
	;; [unrolled: 2-line block ×4, first 2 shown]
	v_mul_f16_sdwa v124, v125, v104 dst_sel:DWORD dst_unused:UNUSED_PAD src0_sel:DWORD src1_sel:WORD_1
	v_fma_f16 v89, v89, v99, -v130
	v_fma_f16 v90, v90, v100, -v116
	s_waitcnt lgkmcnt(1)
	v_lshrrev_b32_e32 v127, 16, v95
	s_waitcnt vmcnt(9)
	v_mul_f16_sdwa v128, v95, v105 dst_sel:DWORD dst_unused:UNUSED_PAD src0_sel:DWORD src1_sel:WORD_1
	v_lshrrev_b32_e32 v129, 16, v96
	v_fma_f16 v125, v125, v104, v126
	v_fma_f16 v91, v91, v101, -v118
	v_fma_f16 v92, v92, v102, -v120
	;; [unrolled: 1-line block ×4, first 2 shown]
	v_pack_b32_f16 v89, v89, v115
	v_pack_b32_f16 v90, v90, v117
	v_mul_f16_sdwa v126, v127, v105 dst_sel:DWORD dst_unused:UNUSED_PAD src0_sel:DWORD src1_sel:WORD_1
	v_fma_f16 v127, v127, v105, v128
	s_waitcnt vmcnt(8)
	v_mul_f16_sdwa v128, v129, v106 dst_sel:DWORD dst_unused:UNUSED_PAD src0_sel:DWORD src1_sel:WORD_1
	v_pack_b32_f16 v91, v91, v119
	v_pack_b32_f16 v92, v92, v121
	v_pack_b32_f16 v93, v93, v123
	v_pack_b32_f16 v94, v94, v125
	ds_write2_b32 v53, v89, v90 offset0:75 offset1:150
	ds_write2_b32 v87, v91, v92 offset0:97 offset1:172
	;; [unrolled: 1-line block ×3, first 2 shown]
	v_mul_f16_sdwa v87, v96, v106 dst_sel:DWORD dst_unused:UNUSED_PAD src0_sel:DWORD src1_sel:WORD_1
	v_fma_f16 v95, v95, v105, -v126
	v_fma_f16 v99, v96, v106, -v128
	v_fma_f16 v87, v129, v106, v87
	v_pack_b32_f16 v95, v95, v127
	v_pack_b32_f16 v87, v99, v87
	ds_write2_b32 v86, v95, v87 offset0:13 offset1:88
	s_waitcnt lgkmcnt(4)
	v_lshrrev_b32_e32 v87, 16, v97
	s_waitcnt vmcnt(7)
	v_mul_f16_sdwa v88, v87, v107 dst_sel:DWORD dst_unused:UNUSED_PAD src0_sel:DWORD src1_sel:WORD_1
	v_mul_f16_sdwa v89, v97, v107 dst_sel:DWORD dst_unused:UNUSED_PAD src0_sel:DWORD src1_sel:WORD_1
	v_fma_f16 v88, v97, v107, -v88
	v_fma_f16 v87, v87, v107, v89
	v_lshrrev_b32_e32 v90, 16, v98
	v_pack_b32_f16 v89, v88, v87
	s_waitcnt vmcnt(6)
	v_mul_f16_sdwa v87, v90, v108 dst_sel:DWORD dst_unused:UNUSED_PAD src0_sel:DWORD src1_sel:WORD_1
	v_fma_f16 v91, v98, v108, -v87
	ds_read2_b32 v[87:88], v69 offset0:57 offset1:132
	v_mul_f16_sdwa v92, v98, v108 dst_sel:DWORD dst_unused:UNUSED_PAD src0_sel:DWORD src1_sel:WORD_1
	v_fma_f16 v90, v90, v108, v92
	v_pack_b32_f16 v90, v91, v90
	ds_write2_b32 v86, v89, v90 offset0:163 offset1:238
	s_waitcnt lgkmcnt(1)
	v_lshrrev_b32_e32 v86, 16, v87
	s_waitcnt vmcnt(5)
	v_mul_f16_sdwa v89, v86, v109 dst_sel:DWORD dst_unused:UNUSED_PAD src0_sel:DWORD src1_sel:WORD_1
	v_fma_f16 v89, v87, v109, -v89
	v_mul_f16_sdwa v87, v87, v109 dst_sel:DWORD dst_unused:UNUSED_PAD src0_sel:DWORD src1_sel:WORD_1
	v_fma_f16 v86, v86, v109, v87
	v_lshrrev_b32_e32 v90, 16, v88
	v_pack_b32_f16 v89, v89, v86
	s_waitcnt vmcnt(4)
	v_mul_f16_sdwa v86, v90, v110 dst_sel:DWORD dst_unused:UNUSED_PAD src0_sel:DWORD src1_sel:WORD_1
	v_add_u32_e32 v92, 0xe00, v53
	v_fma_f16 v91, v88, v110, -v86
	ds_read2_b32 v[86:87], v92 offset0:79 offset1:154
	v_mul_f16_sdwa v88, v88, v110 dst_sel:DWORD dst_unused:UNUSED_PAD src0_sel:DWORD src1_sel:WORD_1
	v_fma_f16 v88, v90, v110, v88
	v_pack_b32_f16 v88, v91, v88
	ds_write2_b32 v69, v89, v88 offset0:57 offset1:132
	s_waitcnt lgkmcnt(1)
	v_lshrrev_b32_e32 v69, 16, v86
	s_waitcnt vmcnt(0)
	v_mul_f16_sdwa v88, v69, v114 dst_sel:DWORD dst_unused:UNUSED_PAD src0_sel:DWORD src1_sel:WORD_1
	v_fma_f16 v88, v86, v114, -v88
	v_mul_f16_sdwa v86, v86, v114 dst_sel:DWORD dst_unused:UNUSED_PAD src0_sel:DWORD src1_sel:WORD_1
	v_fma_f16 v69, v69, v114, v86
	v_lshrrev_b32_e32 v86, 16, v87
	v_pack_b32_f16 v69, v88, v69
	v_mul_f16_sdwa v88, v86, v112 dst_sel:DWORD dst_unused:UNUSED_PAD src0_sel:DWORD src1_sel:WORD_1
	v_fma_f16 v90, v87, v112, -v88
	ds_read2_b32 v[88:89], v68 offset0:101 offset1:176
	v_mul_f16_sdwa v87, v87, v112 dst_sel:DWORD dst_unused:UNUSED_PAD src0_sel:DWORD src1_sel:WORD_1
	v_fma_f16 v86, v86, v112, v87
	v_pack_b32_f16 v86, v90, v86
	ds_write2_b32 v92, v69, v86 offset0:79 offset1:154
	s_waitcnt lgkmcnt(1)
	v_lshrrev_b32_e32 v69, 16, v88
	v_mul_f16_sdwa v86, v69, v113 dst_sel:DWORD dst_unused:UNUSED_PAD src0_sel:DWORD src1_sel:WORD_1
	v_mul_f16_sdwa v87, v88, v113 dst_sel:DWORD dst_unused:UNUSED_PAD src0_sel:DWORD src1_sel:WORD_1
	v_fma_f16 v86, v88, v113, -v86
	v_fma_f16 v69, v69, v113, v87
	v_pack_b32_f16 v69, v86, v69
	v_lshrrev_b32_e32 v86, 16, v89
	v_mul_f16_sdwa v87, v86, v111 dst_sel:DWORD dst_unused:UNUSED_PAD src0_sel:DWORD src1_sel:WORD_1
	v_mul_f16_sdwa v88, v89, v111 dst_sel:DWORD dst_unused:UNUSED_PAD src0_sel:DWORD src1_sel:WORD_1
	v_fma_f16 v87, v89, v111, -v87
	v_fma_f16 v86, v86, v111, v88
	v_pack_b32_f16 v86, v87, v86
	ds_write2_b32 v68, v69, v86 offset0:101 offset1:176
.LBB0_9:
	s_or_b64 exec, exec, s[2:3]
	s_waitcnt lgkmcnt(0)
	s_barrier
	s_and_saveexec_b64 s[2:3], s[0:1]
	s_cbranch_execz .LBB0_11
; %bb.10:
	v_add_u32_e32 v25, 0x200, v67
	ds_read_b32 v70, v67
	ds_read2_b32 v[37:38], v67 offset0:75 offset1:150
	ds_read2_b32 v[39:40], v25 offset0:97 offset1:172
	v_add_u32_e32 v25, 0x400, v67
	ds_read2_b32 v[41:42], v25 offset0:119 offset1:194
	v_add_u32_e32 v25, 0x800, v67
	ds_read2_b32 v[45:46], v25 offset0:13 offset1:88
	ds_read2_b32 v[43:44], v25 offset0:163 offset1:238
	v_add_u32_e32 v25, 0xc00, v67
	ds_read2_b32 v[47:48], v25 offset0:57 offset1:132
	v_add_u32_e32 v25, 0xe00, v67
	;; [unrolled: 2-line block ×3, first 2 shown]
	ds_read2_b32 v[25:26], v25 offset0:101 offset1:176
	s_waitcnt lgkmcnt(8)
	v_lshrrev_b32_e32 v71, 16, v70
	s_waitcnt lgkmcnt(7)
	v_lshrrev_b32_e32 v72, 16, v37
	v_lshrrev_b32_e32 v73, 16, v38
	s_waitcnt lgkmcnt(6)
	v_lshrrev_b32_e32 v74, 16, v39
	;; [unrolled: 3-line block ×8, first 2 shown]
	v_lshrrev_b32_e32 v57, 16, v26
.LBB0_11:
	s_or_b64 exec, exec, s[2:3]
	v_add_u32_e32 v69, 0x154, v53
	v_add_u32_e32 v68, 0x2a8, v53
	s_barrier
	s_and_saveexec_b64 s[2:3], s[0:1]
	s_cbranch_execz .LBB0_13
; %bb.12:
	v_add_f16_e32 v108, v57, v72
	v_mul_f16_e32 v109, 0xbbdd, v108
	v_sub_f16_e32 v86, v37, v26
	s_movk_i32 s27, 0x31e1
	v_fma_f16 v87, v86, s27, v109
	v_add_f16_e32 v110, v56, v73
	v_add_f16_e32 v88, v71, v87
	v_mul_f16_e32 v111, 0x3b76, v110
	v_sub_f16_e32 v87, v38, v25
	s_mov_b32 s17, 0xb5c8
	v_fma_f16 v89, v87, s17, v111
	v_add_f16_e32 v112, v83, v74
	v_add_f16_e32 v88, v89, v88
	v_mul_f16_e32 v113, 0xbacd, v112
	v_sub_f16_e32 v89, v39, v50
	s_movk_i32 s23, 0x3836
	v_fma_f16 v90, v89, s23, v113
	v_add_f16_e32 v114, v85, v75
	v_add_f16_e32 v88, v90, v88
	v_mul_f16_e32 v115, 0x39e9, v114
	v_sub_f16_e32 v90, v40, v49
	s_mov_b32 s20, 0xb964
	v_fma_f16 v91, v90, s20, v115
	v_add_f16_e32 v116, v84, v76
	;; [unrolled: 12-line block ×3, first 2 shown]
	v_add_f16_e32 v88, v93, v88
	v_mul_f16_e32 v121, 0xb461, v120
	v_sub_f16_e32 v93, v45, v44
	s_movk_i32 s28, 0x3bb2
	v_fma_f16 v94, v93, s28, v121
	v_add_f16_e32 v122, v78, v80
	v_add_f16_e32 v88, v94, v88
	v_mul_f16_e32 v123, 0x2de8, v122
	v_sub_f16_e32 v94, v46, v43
	s_mov_b32 s25, 0xbbf7
	v_fma_f16 v95, v94, s25, v123
	v_sub_f16_e32 v124, v72, v57
	s_mov_b32 s4, 0xbbdd
	v_add_f16_e32 v88, v95, v88
	v_add_f16_e32 v95, v26, v37
	v_mul_f16_e32 v125, 0xb1e1, v124
	v_fma_f16 v96, v95, s4, v125
	v_sub_f16_e32 v126, v73, v56
	s_movk_i32 s14, 0x3b76
	v_add_f16_e32 v97, v70, v96
	v_add_f16_e32 v96, v25, v38
	v_mul_f16_e32 v127, 0x35c8, v126
	v_fma_f16 v98, v96, s14, v127
	v_sub_f16_e32 v128, v74, v83
	s_mov_b32 s5, 0xbacd
	v_add_f16_e32 v98, v98, v97
	v_add_f16_e32 v97, v50, v39
	v_mul_f16_e32 v129, 0xb836, v128
	v_fma_f16 v99, v97, s5, v129
	v_sub_f16_e32 v130, v75, v85
	s_movk_i32 s16, 0x39e9
	v_add_f16_e32 v99, v99, v98
	v_add_f16_e32 v98, v49, v40
	v_mul_f16_e32 v131, 0x3964, v130
	;; [unrolled: 12-line block ×4, first 2 shown]
	v_fma_f16 v104, v103, s21, v139
	v_mul_f16_e32 v140, 0xbacd, v108
	v_add_f16_e32 v100, v104, v100
	v_fma_f16 v104, v86, s23, v140
	v_mul_f16_e32 v141, 0x3722, v110
	s_movk_i32 s36, 0x3bf7
	v_add_f16_e32 v104, v71, v104
	v_fma_f16 v105, v87, s22, v141
	v_mul_f16_e32 v142, 0x2de8, v112
	s_mov_b32 s29, 0xba62
	v_add_f16_e32 v104, v105, v104
	v_fma_f16 v105, v89, s36, v142
	v_mul_f16_e32 v143, 0xb8d2, v114
	s_movk_i32 s30, 0x35c8
	v_add_f16_e32 v104, v105, v104
	v_fma_f16 v105, v90, s29, v143
	v_mul_f16_e32 v144, 0x3b76, v116
	v_add_f16_e32 v104, v105, v104
	v_fma_f16 v105, v91, s30, v144
	v_mul_f16_e32 v145, 0xbbdd, v118
	;; [unrolled: 3-line block ×13, first 2 shown]
	s_mov_b32 s31, 0xbbb2
	v_add_f16_e32 v105, v106, v105
	v_fma_f16 v106, v86, s34, v156
	v_mul_f16_e32 v157, 0xb461, v110
	v_add_f16_e32 v106, v71, v106
	v_fma_f16 v107, v87, s31, v157
	v_mul_f16_e32 v158, 0x3b76, v112
	;; [unrolled: 3-line block ×4, first 2 shown]
	s_movk_i32 s35, 0x3964
	v_add_f16_e32 v106, v107, v106
	v_fma_f16 v107, v91, s25, v160
	v_mul_f16_e32 v161, 0x39e9, v118
	v_add_f16_e32 v106, v107, v106
	v_fma_f16 v107, v92, s35, v161
	v_mul_f16_e32 v162, 0xbbdd, v120
	;; [unrolled: 3-line block ×5, first 2 shown]
	v_add_f16_e32 v107, v70, v107
	v_fma_f16 v166, v96, s19, v165
	v_add_f16_e32 v107, v166, v107
	v_mul_f16_e32 v166, 0xb5c8, v128
	v_fma_f16 v167, v97, s14, v166
	v_add_f16_e32 v107, v167, v107
	v_mul_f16_e32 v167, 0xb836, v130
	;; [unrolled: 3-line block ×7, first 2 shown]
	s_mov_b32 s26, 0xb836
	v_fma_f16 v173, v86, s28, v172
	v_mul_f16_e32 v174, 0xbacd, v110
	v_add_f16_e32 v173, v71, v173
	v_fma_f16 v175, v87, s26, v174
	v_add_f16_e32 v37, v37, v70
	v_add_f16_e32 v173, v175, v173
	v_mul_f16_e32 v175, 0x39e9, v112
	v_add_f16_e32 v37, v38, v37
	v_fma_f16 v176, v89, s20, v175
	v_add_f16_e32 v37, v39, v37
	s_movk_i32 s33, 0x3b29
	v_add_f16_e32 v173, v176, v173
	v_mul_f16_e32 v176, 0x3722, v114
	v_add_f16_e32 v37, v40, v37
	v_fma_f16 v177, v90, s33, v176
	v_add_f16_e32 v37, v41, v37
	v_add_f16_e32 v173, v177, v173
	v_mul_f16_e32 v177, 0xbbdd, v116
	v_add_f16_e32 v37, v42, v37
	v_fma_f16 v178, v91, s27, v177
	v_add_f16_e32 v37, v45, v37
	;; [unrolled: 5-line block ×5, first 2 shown]
	s_mov_b32 s24, 0xb1e1
	v_add_f16_e32 v173, v181, v173
	v_mul_f16_e32 v181, 0xbbb2, v124
	v_add_f16_e32 v37, v50, v37
	v_fma_f16 v182, v95, s19, v181
	v_mul_f16_e32 v183, 0x3836, v126
	v_add_f16_e32 v25, v25, v37
	v_fma_f16 v37, v86, s24, v109
	v_add_f16_e32 v182, v70, v182
	v_fma_f16 v184, v96, s5, v183
	v_add_f16_e32 v37, v71, v37
	v_fma_f16 v38, v87, s30, v111
	v_add_f16_e32 v182, v184, v182
	v_mul_f16_e32 v184, 0x3964, v128
	v_add_f16_e32 v37, v38, v37
	v_fma_f16 v38, v89, s26, v113
	v_fma_f16 v185, v97, s16, v184
	v_add_f16_e32 v37, v38, v37
	v_fma_f16 v38, v90, s35, v115
	v_add_f16_e32 v182, v185, v182
	v_mul_f16_e32 v185, 0xbb29, v130
	v_add_f16_e32 v37, v38, v37
	v_fma_f16 v38, v91, s29, v117
	v_fma_f16 v186, v98, s18, v185
	v_add_f16_e32 v37, v38, v37
	v_fma_f16 v38, v92, s33, v119
	;; [unrolled: 7-line block ×3, first 2 shown]
	v_add_f16_e32 v182, v187, v182
	v_mul_f16_e32 v187, 0x3bf7, v134
	v_add_f16_e32 v37, v38, v37
	v_fma_f16 v38, v95, s4, -v125
	v_fma_f16 v188, v101, s21, v187
	v_add_f16_e32 v38, v70, v38
	v_fma_f16 v39, v96, s14, -v127
	v_add_f16_e32 v182, v188, v182
	v_mul_f16_e32 v188, 0xb5c8, v136
	v_add_f16_e32 v38, v39, v38
	v_fma_f16 v39, v97, s5, -v129
	v_fma_f16 v189, v102, s14, v188
	v_add_f16_e32 v38, v39, v38
	v_fma_f16 v39, v98, s16, -v131
	;; [unrolled: 7-line block ×3, first 2 shown]
	v_add_f16_e32 v182, v190, v182
	v_mul_f16_e32 v190, 0x2de8, v108
	v_add_f16_e32 v38, v39, v38
	v_fma_f16 v39, v102, s19, -v137
	v_fma_f16 v191, v86, s36, v190
	v_mul_f16_e32 v192, 0xbbdd, v110
	v_add_f16_e32 v38, v39, v38
	v_fma_f16 v39, v103, s21, -v139
	v_add_f16_e32 v191, v71, v191
	v_fma_f16 v193, v87, s27, v192
	v_add_f16_e32 v38, v39, v38
	v_fma_f16 v39, v86, s26, v140
	v_add_f16_e32 v191, v193, v191
	v_mul_f16_e32 v193, 0xb461, v112
	v_add_f16_e32 v39, v71, v39
	v_fma_f16 v40, v87, s33, v141
	v_fma_f16 v194, v89, s31, v193
	v_add_f16_e32 v39, v40, v39
	v_fma_f16 v40, v89, s25, v142
	v_add_f16_e32 v191, v194, v191
	v_mul_f16_e32 v194, 0x3b76, v114
	v_add_f16_e32 v39, v40, v39
	v_fma_f16 v40, v90, s34, v143
	;; [unrolled: 7-line block ×4, first 2 shown]
	v_fma_f16 v197, v92, s23, v196
	v_add_f16_e32 v39, v40, v39
	v_fma_f16 v40, v95, s5, -v148
	v_add_f16_e32 v191, v197, v191
	v_mul_f16_e32 v197, 0xb8d2, v120
	v_add_f16_e32 v40, v70, v40
	v_fma_f16 v41, v96, s18, -v149
	v_fma_f16 v198, v93, s29, v197
	v_add_f16_e32 v40, v41, v40
	v_fma_f16 v41, v97, s21, -v150
	v_add_f16_e32 v191, v198, v191
	v_mul_f16_e32 v198, 0x39e9, v122
	v_add_f16_e32 v40, v41, v40
	v_fma_f16 v41, v98, s15, -v151
	;; [unrolled: 7-line block ×3, first 2 shown]
	v_fma_f16 v200, v95, s21, v199
	v_mul_f16_e32 v201, 0xb1e1, v126
	v_add_f16_e32 v40, v41, v40
	v_fma_f16 v41, v102, s16, -v154
	v_add_f16_e32 v200, v70, v200
	v_fma_f16 v202, v96, s4, v201
	v_add_f16_e32 v40, v41, v40
	v_fma_f16 v41, v103, s19, -v155
	v_add_f16_e32 v200, v202, v200
	v_mul_f16_e32 v202, 0x3bb2, v128
	v_add_f16_e32 v40, v41, v40
	v_fma_f16 v41, v86, s29, v156
	v_fma_f16 v203, v97, s19, v202
	v_add_f16_e32 v41, v71, v41
	v_fma_f16 v42, v87, s28, v157
	v_add_f16_e32 v200, v203, v200
	v_mul_f16_e32 v203, 0x35c8, v130
	v_add_f16_e32 v41, v42, v41
	v_fma_f16 v42, v89, s17, v158
	v_fma_f16 v204, v98, s14, v203
	v_add_f16_e32 v41, v42, v41
	v_fma_f16 v42, v90, s26, v159
	;; [unrolled: 7-line block ×4, first 2 shown]
	v_add_f16_e32 v200, v206, v200
	v_mul_f16_e32 v206, 0x3a62, v136
	v_add_f16_e32 v41, v42, v41
	v_fma_f16 v42, v95, s15, -v164
	v_fma_f16 v207, v102, s15, v206
	v_add_f16_e32 v42, v70, v42
	v_fma_f16 v43, v96, s19, -v165
	v_add_f16_e32 v200, v207, v200
	v_mul_f16_e32 v207, 0x3964, v138
	v_add_f16_e32 v42, v43, v42
	v_fma_f16 v43, v97, s14, -v166
	v_fma_f16 v208, v103, s16, v207
	v_add_f16_e32 v42, v43, v42
	v_fma_f16 v43, v98, s5, -v167
	v_add_f16_e32 v200, v208, v200
	v_mul_f16_e32 v208, 0x3722, v108
	v_add_f16_e32 v42, v43, v42
	v_fma_f16 v43, v99, s21, -v168
	v_fma_f16 v209, v86, s33, v208
	v_mul_f16_e32 v210, 0xb8d2, v110
	v_add_f16_e32 v42, v43, v42
	v_fma_f16 v43, v101, s16, -v169
	v_add_f16_e32 v209, v71, v209
	v_fma_f16 v211, v87, s34, v210
	v_add_f16_e32 v42, v43, v42
	v_fma_f16 v43, v102, s4, -v170
	v_add_f16_e32 v209, v211, v209
	v_mul_f16_e32 v211, 0xbbdd, v112
	v_add_f16_e32 v42, v43, v42
	v_fma_f16 v43, v103, s18, -v171
	v_fma_f16 v212, v89, s24, v211
	v_add_f16_e32 v42, v43, v42
	v_fma_f16 v43, v86, s31, v172
	v_add_f16_e32 v209, v212, v209
	v_mul_f16_e32 v212, 0xb461, v114
	v_add_f16_e32 v43, v71, v43
	v_fma_f16 v44, v87, s23, v174
	v_fma_f16 v213, v90, s31, v212
	v_add_f16_e32 v43, v44, v43
	v_fma_f16 v44, v89, s35, v175
	v_add_f16_e32 v209, v213, v209
	v_mul_f16_e32 v213, 0x39e9, v116
	v_add_f16_e32 v43, v44, v43
	v_fma_f16 v44, v90, s22, v176
	;; [unrolled: 7-line block ×4, first 2 shown]
	v_fma_f16 v216, v93, s36, v215
	v_add_f16_e32 v43, v44, v43
	v_fma_f16 v44, v95, s19, -v181
	v_add_f16_e32 v209, v216, v209
	v_mul_f16_e32 v216, 0xbacd, v122
	v_add_f16_e32 v44, v70, v44
	v_fma_f16 v45, v96, s5, -v183
	v_fma_f16 v217, v94, s23, v216
	v_add_f16_e32 v44, v45, v44
	v_fma_f16 v45, v97, s16, -v184
	v_add_f16_e32 v209, v217, v209
	v_mul_f16_e32 v217, 0xbb29, v124
	v_add_f16_e32 v44, v45, v44
	v_fma_f16 v45, v98, s18, -v185
	v_fma_f16 v218, v95, s18, v217
	v_mul_f16_e32 v219, 0xba62, v126
	v_add_f16_e32 v44, v45, v44
	v_fma_f16 v45, v99, s4, -v186
	v_add_f16_e32 v218, v70, v218
	v_fma_f16 v220, v96, s15, v219
	v_add_f16_e32 v44, v45, v44
	v_fma_f16 v45, v101, s21, -v187
	v_add_f16_e32 v218, v220, v218
	v_mul_f16_e32 v220, 0x31e1, v128
	v_add_f16_e32 v44, v45, v44
	v_fma_f16 v45, v102, s14, -v188
	v_fma_f16 v221, v97, s4, v220
	v_add_f16_e32 v44, v45, v44
	v_fma_f16 v45, v103, s15, -v189
	v_add_f16_e32 v218, v221, v218
	v_mul_f16_e32 v221, 0x3bb2, v130
	v_add_f16_e32 v44, v45, v44
	v_fma_f16 v45, v86, s25, v190
	v_fma_f16 v222, v98, s19, v221
	v_add_f16_e32 v45, v71, v45
	v_fma_f16 v46, v87, s24, v192
	v_add_f16_e32 v218, v222, v218
	v_mul_f16_e32 v222, 0x3964, v132
	v_add_f16_e32 v45, v46, v45
	v_fma_f16 v46, v89, s28, v193
	v_fma_f16 v223, v99, s16, v222
	v_add_f16_e32 v45, v46, v45
	v_fma_f16 v46, v90, s30, v194
	;; [unrolled: 7-line block ×4, first 2 shown]
	v_add_f16_e32 v218, v225, v218
	v_mul_f16_e32 v225, 0xb836, v138
	v_add_f16_e32 v45, v46, v45
	v_fma_f16 v46, v95, s21, -v199
	v_fma_f16 v226, v103, s5, v225
	v_add_f16_e32 v46, v70, v46
	v_fma_f16 v47, v96, s4, -v201
	v_add_f16_e32 v218, v226, v218
	v_mul_f16_e32 v226, 0x39e9, v108
	v_add_f16_e32 v46, v47, v46
	v_fma_f16 v47, v97, s19, -v202
	v_fma_f16 v227, v86, s35, v226
	v_mul_f16_e32 v228, 0x2de8, v110
	v_add_f16_e32 v46, v47, v46
	v_fma_f16 v47, v98, s14, -v203
	v_add_f16_e32 v227, v71, v227
	v_fma_f16 v229, v87, s36, v228
	v_add_f16_e32 v46, v47, v46
	v_fma_f16 v47, v99, s18, -v204
	v_add_f16_e32 v227, v229, v227
	v_mul_f16_e32 v229, 0xb8d2, v112
	v_add_f16_e32 v46, v47, v46
	v_fma_f16 v47, v101, s5, -v205
	v_fma_f16 v230, v89, s34, v229
	v_add_f16_e32 v46, v47, v46
	v_fma_f16 v47, v102, s15, -v206
	v_add_f16_e32 v227, v230, v227
	v_mul_f16_e32 v230, 0xbbdd, v114
	v_add_f16_e32 v46, v47, v46
	v_fma_f16 v47, v103, s16, -v207
	v_fma_f16 v231, v90, s27, v230
	v_add_f16_e32 v46, v47, v46
	v_fma_f16 v47, v86, s22, v208
	v_add_f16_e32 v227, v231, v227
	v_mul_f16_e32 v231, 0xbacd, v116
	v_add_f16_e32 v47, v71, v47
	v_fma_f16 v48, v87, s29, v210
	v_fma_f16 v232, v91, s26, v231
	v_add_f16_e32 v47, v48, v47
	v_fma_f16 v48, v89, s27, v211
	v_add_f16_e32 v227, v232, v227
	v_mul_f16_e32 v232, 0xb461, v118
	v_add_f16_e32 v47, v48, v47
	v_fma_f16 v48, v90, s28, v212
	;; [unrolled: 7-line block ×4, first 2 shown]
	v_fma_f16 v235, v94, s17, v234
	v_add_f16_e32 v47, v48, v47
	v_fma_f16 v48, v95, s18, -v217
	v_add_f16_e32 v227, v235, v227
	v_mul_f16_e32 v235, 0xb964, v124
	v_add_f16_e32 v48, v70, v48
	v_fma_f16 v49, v96, s15, -v219
	v_fma_f16 v236, v95, s16, v235
	v_mul_f16_e32 v237, 0xbbf7, v126
	v_add_f16_e32 v48, v49, v48
	v_fma_f16 v49, v97, s4, -v220
	v_add_f16_e32 v236, v70, v236
	v_fma_f16 v238, v96, s21, v237
	v_add_f16_e32 v25, v26, v25
	v_add_f16_e32 v26, v72, v71
	v_add_f16_e32 v48, v49, v48
	v_fma_f16 v49, v98, s19, -v221
	v_add_f16_e32 v236, v238, v236
	v_mul_f16_e32 v238, 0xba62, v128
	v_add_f16_e32 v26, v73, v26
	v_add_f16_e32 v48, v49, v48
	v_fma_f16 v49, v99, s16, -v222
	v_fma_f16 v239, v97, s15, v238
	v_add_f16_e32 v26, v74, v26
	v_add_f16_e32 v48, v49, v48
	v_fma_f16 v49, v101, s14, -v223
	v_add_f16_e32 v236, v239, v236
	v_mul_f16_e32 v239, 0xb1e1, v130
	v_add_f16_e32 v26, v75, v26
	v_add_f16_e32 v48, v49, v48
	v_fma_f16 v49, v102, s21, -v224
	v_fma_f16 v240, v98, s4, v239
	v_add_f16_e32 v26, v76, v26
	v_add_f16_e32 v48, v49, v48
	v_fma_f16 v49, v103, s5, -v225
	v_add_f16_e32 v236, v240, v236
	v_mul_f16_e32 v240, 0x3836, v132
	v_add_f16_e32 v26, v77, v26
	v_add_f16_e32 v48, v49, v48
	v_fma_f16 v49, v86, s20, v226
	v_fma_f16 v241, v99, s5, v240
	v_add_f16_e32 v26, v79, v26
	v_add_f16_e32 v49, v71, v49
	v_fma_f16 v50, v87, s25, v228
	v_add_f16_e32 v236, v241, v236
	v_mul_f16_e32 v241, 0x3bb2, v134
	v_add_f16_e32 v26, v80, v26
	v_add_f16_e32 v49, v50, v49
	v_fma_f16 v50, v89, s29, v229
	v_fma_f16 v242, v101, s19, v241
	v_add_f16_e32 v26, v78, v26
	v_add_f16_e32 v49, v50, v49
	v_fma_f16 v50, v90, s24, v230
	;; [unrolled: 9-line block ×3, first 2 shown]
	v_add_f16_e32 v236, v243, v236
	v_mul_f16_e32 v243, 0x35c8, v138
	v_add_f16_e32 v26, v84, v26
	v_add_f16_e32 v49, v50, v49
	v_fma_f16 v50, v93, s33, v233
	v_fma_f16 v244, v103, s14, v243
	v_mul_f16_e32 v108, 0x3b76, v108
	v_add_f16_e32 v26, v85, v26
	v_add_f16_e32 v49, v50, v49
	v_fma_f16 v50, v94, s30, v234
	v_add_f16_e32 v236, v244, v236
	v_fma_f16 v244, v86, s30, v108
	v_mul_f16_e32 v110, 0x39e9, v110
	v_add_f16_e32 v26, v83, v26
	v_add_f16_e32 v49, v50, v49
	v_fma_f16 v50, v95, s16, -v235
	v_add_f16_e32 v244, v71, v244
	v_fma_f16 v245, v87, s35, v110
	v_mul_f16_e32 v112, 0x3722, v112
	v_add_f16_e32 v26, v56, v26
	v_add_f16_e32 v50, v70, v50
	v_fma_f16 v56, v96, s21, -v237
	v_add_f16_e32 v244, v245, v244
	v_fma_f16 v245, v89, s33, v112
	v_mul_f16_e32 v114, 0x2de8, v114
	v_add_f16_e32 v50, v56, v50
	v_fma_f16 v56, v97, s15, -v238
	v_add_f16_e32 v244, v245, v244
	v_fma_f16 v245, v90, s36, v114
	v_mul_f16_e32 v116, 0xb461, v116
	;; [unrolled: 5-line block ×7, first 2 shown]
	v_add_f16_e32 v50, v56, v50
	v_fma_f16 v56, v86, s17, v108
	v_add_f16_e32 v245, v70, v245
	v_fma_f16 v246, v96, s16, v126
	v_mul_f16_e32 v128, 0xbb29, v128
	v_add_f16_e32 v26, v57, v26
	v_add_f16_e32 v56, v71, v56
	v_fma_f16 v57, v87, s20, v110
	v_add_f16_e32 v245, v246, v245
	v_fma_f16 v246, v97, s18, v128
	v_mul_f16_e32 v130, 0xbbf7, v130
	v_add_f16_e32 v56, v57, v56
	v_fma_f16 v57, v89, s22, v112
	v_add_f16_e32 v245, v246, v245
	v_fma_f16 v246, v98, s21, v130
	v_mul_f16_e32 v132, 0xbbb2, v132
	;; [unrolled: 5-line block ×5, first 2 shown]
	v_add_f16_e32 v56, v57, v56
	v_fma_f16 v57, v93, s26, v120
	v_add_f16_e32 v245, v246, v245
	v_fma_f16 v246, v103, s4, v138
	;; [unrolled: 2-line block ×3, first 2 shown]
	v_add_f16_e32 v245, v246, v245
	v_add_f16_e32 v56, v57, v56
	v_fma_f16 v57, v95, s14, -v124
	v_add_f16_e32 v57, v70, v57
	v_fma_f16 v70, v96, s16, -v126
	v_lshl_add_u32 v54, v55, 2, v54
	v_pack_b32_f16 v55, v245, v244
	v_pack_b32_f16 v25, v25, v26
	v_add_f16_e32 v57, v70, v57
	v_fma_f16 v70, v97, s18, -v128
	ds_write2_b32 v54, v25, v55 offset1:1
	v_pack_b32_f16 v25, v218, v209
	v_pack_b32_f16 v26, v236, v227
	v_add_f16_e32 v57, v70, v57
	v_fma_f16 v70, v98, s21, -v130
	ds_write2_b32 v54, v26, v25 offset0:2 offset1:3
	v_pack_b32_f16 v25, v182, v173
	v_pack_b32_f16 v26, v200, v191
	v_add_f16_e32 v57, v70, v57
	v_fma_f16 v70, v99, s19, -v132
	ds_write2_b32 v54, v26, v25 offset0:4 offset1:5
	;; [unrolled: 5-line block ×5, first 2 shown]
	v_pack_b32_f16 v25, v46, v45
	v_pack_b32_f16 v26, v44, v43
	v_add_f16_e32 v57, v70, v57
	ds_write2_b32 v54, v26, v25 offset0:12 offset1:13
	v_pack_b32_f16 v25, v50, v49
	v_pack_b32_f16 v26, v48, v47
	ds_write2_b32 v54, v26, v25 offset0:14 offset1:15
	v_pack_b32_f16 v25, v57, v56
	ds_write_b32 v54, v25 offset:64
.LBB0_13:
	s_or_b64 exec, exec, s[2:3]
	v_add_u32_e32 v49, 0x400, v58
	s_waitcnt lgkmcnt(0)
	s_barrier
	ds_read2_b32 v[37:38], v49 offset0:84 offset1:169
	v_add_u32_e32 v50, 0xc00, v58
	ds_read2_b32 v[39:40], v50 offset0:82 offset1:167
	v_add_u32_e32 v55, 0x600, v58
	ds_read2_b32 v[41:42], v55 offset0:126 offset1:211
	s_waitcnt lgkmcnt(2)
	v_lshrrev_b32_e32 v56, 16, v38
	v_mul_f16_sdwa v85, v29, v56 dst_sel:DWORD dst_unused:UNUSED_PAD src0_sel:WORD_1 src1_sel:DWORD
	s_waitcnt lgkmcnt(1)
	v_lshrrev_b32_e32 v57, 16, v39
	v_fma_f16 v85, v29, v38, v85
	v_mul_f16_sdwa v38, v29, v38 dst_sel:DWORD dst_unused:UNUSED_PAD src0_sel:WORD_1 src1_sel:DWORD
	v_fma_f16 v29, v29, v56, -v38
	v_mul_f16_sdwa v38, v30, v57 dst_sel:DWORD dst_unused:UNUSED_PAD src0_sel:WORD_1 src1_sel:DWORD
	s_waitcnt lgkmcnt(0)
	v_lshrrev_b32_e32 v71, 16, v41
	v_add_u32_e32 v73, 0xe00, v58
	v_fma_f16 v38, v30, v39, v38
	v_mul_f16_sdwa v39, v30, v39 dst_sel:DWORD dst_unused:UNUSED_PAD src0_sel:WORD_1 src1_sel:DWORD
	ds_read2_b32 v[45:46], v73 offset0:124 offset1:209
	v_fma_f16 v30, v30, v57, -v39
	v_mul_f16_sdwa v39, v27, v71 dst_sel:DWORD dst_unused:UNUSED_PAD src0_sel:WORD_1 src1_sel:DWORD
	v_lshrrev_b32_e32 v72, 16, v40
	v_add_u32_e32 v75, 0x800, v58
	v_fma_f16 v39, v27, v41, v39
	v_mul_f16_sdwa v41, v27, v41 dst_sel:DWORD dst_unused:UNUSED_PAD src0_sel:WORD_1 src1_sel:DWORD
	ds_read2_b32 v[47:48], v75 offset0:168 offset1:253
	v_fma_f16 v27, v27, v71, -v41
	v_mul_f16_sdwa v41, v28, v72 dst_sel:DWORD dst_unused:UNUSED_PAD src0_sel:WORD_1 src1_sel:DWORD
	v_lshrrev_b32_e32 v76, 16, v42
	v_fma_f16 v41, v28, v40, v41
	v_mul_f16_sdwa v40, v28, v40 dst_sel:DWORD dst_unused:UNUSED_PAD src0_sel:WORD_1 src1_sel:DWORD
	v_fma_f16 v28, v28, v72, -v40
	v_mul_f16_sdwa v40, v33, v76 dst_sel:DWORD dst_unused:UNUSED_PAD src0_sel:WORD_1 src1_sel:DWORD
	s_waitcnt lgkmcnt(1)
	v_lshrrev_b32_e32 v77, 16, v45
	v_fma_f16 v40, v33, v42, v40
	v_mul_f16_sdwa v42, v33, v42 dst_sel:DWORD dst_unused:UNUSED_PAD src0_sel:WORD_1 src1_sel:DWORD
	v_fma_f16 v33, v33, v76, -v42
	v_mul_f16_sdwa v42, v34, v77 dst_sel:DWORD dst_unused:UNUSED_PAD src0_sel:WORD_1 src1_sel:DWORD
	s_waitcnt lgkmcnt(0)
	v_lshrrev_b32_e32 v80, 16, v47
	v_fma_f16 v42, v34, v45, v42
	v_mul_f16_sdwa v45, v34, v45 dst_sel:DWORD dst_unused:UNUSED_PAD src0_sel:WORD_1 src1_sel:DWORD
	ds_read_b32 v79, v58 offset:4760
	v_fma_f16 v34, v34, v77, -v45
	v_mul_f16_sdwa v45, v31, v80 dst_sel:DWORD dst_unused:UNUSED_PAD src0_sel:WORD_1 src1_sel:DWORD
	v_lshrrev_b32_e32 v81, 16, v46
	v_fma_f16 v45, v31, v47, v45
	v_mul_f16_sdwa v47, v31, v47 dst_sel:DWORD dst_unused:UNUSED_PAD src0_sel:WORD_1 src1_sel:DWORD
	ds_read2_b32 v[25:26], v58 offset1:85
	v_fma_f16 v31, v31, v80, -v47
	v_mul_f16_sdwa v47, v32, v81 dst_sel:DWORD dst_unused:UNUSED_PAD src0_sel:WORD_1 src1_sel:DWORD
	v_lshrrev_b32_e32 v83, 16, v48
	v_fma_f16 v47, v32, v46, v47
	v_mul_f16_sdwa v46, v32, v46 dst_sel:DWORD dst_unused:UNUSED_PAD src0_sel:WORD_1 src1_sel:DWORD
	v_fma_f16 v32, v32, v81, -v46
	v_mul_f16_sdwa v46, v35, v83 dst_sel:DWORD dst_unused:UNUSED_PAD src0_sel:WORD_1 src1_sel:DWORD
	s_waitcnt lgkmcnt(1)
	v_lshrrev_b32_e32 v84, 16, v79
	v_fma_f16 v46, v35, v48, v46
	v_mul_f16_sdwa v48, v35, v48 dst_sel:DWORD dst_unused:UNUSED_PAD src0_sel:WORD_1 src1_sel:DWORD
	v_fma_f16 v35, v35, v83, -v48
	v_mul_f16_sdwa v48, v36, v84 dst_sel:DWORD dst_unused:UNUSED_PAD src0_sel:WORD_1 src1_sel:DWORD
	v_mul_f16_sdwa v56, v36, v79 dst_sel:DWORD dst_unused:UNUSED_PAD src0_sel:WORD_1 src1_sel:DWORD
	v_add_f16_e32 v57, v85, v38
	s_waitcnt lgkmcnt(0)
	v_lshrrev_b32_e32 v54, 16, v25
	v_fma_f16 v48, v36, v79, v48
	v_fma_f16 v36, v36, v84, -v56
	v_add_f16_e32 v56, v25, v85
	v_fma_f16 v25, v57, -0.5, v25
	v_sub_f16_e32 v57, v29, v30
	s_mov_b32 s2, 0xbaee
	s_movk_i32 s3, 0x3aee
	ds_read2_b32 v[43:44], v58 offset0:170 offset1:255
	v_fma_f16 v71, v57, s2, v25
	v_fma_f16 v25, v57, s3, v25
	v_add_f16_e32 v57, v54, v29
	v_add_f16_e32 v29, v29, v30
	;; [unrolled: 1-line block ×3, first 2 shown]
	v_fma_f16 v29, v29, -0.5, v54
	v_sub_f16_e32 v30, v85, v38
	v_add_f16_e32 v54, v39, v41
	v_lshrrev_b32_e32 v70, 16, v26
	v_add_f16_e32 v56, v56, v38
	v_fma_f16 v38, v30, s3, v29
	v_fma_f16 v29, v30, s2, v29
	v_add_f16_e32 v30, v26, v39
	v_fma_f16 v26, v54, -0.5, v26
	v_sub_f16_e32 v54, v27, v28
	v_fma_f16 v72, v54, s2, v26
	v_fma_f16 v26, v54, s3, v26
	v_add_f16_e32 v54, v70, v27
	v_add_f16_e32 v27, v27, v28
	;; [unrolled: 1-line block ×4, first 2 shown]
	v_fma_f16 v27, v27, -0.5, v70
	v_sub_f16_e32 v28, v39, v41
	v_add_f16_e32 v41, v40, v42
	s_waitcnt lgkmcnt(0)
	v_lshrrev_b32_e32 v74, 16, v43
	v_fma_f16 v39, v28, s3, v27
	v_fma_f16 v27, v28, s2, v27
	v_add_f16_e32 v28, v43, v40
	v_fma_f16 v41, v41, -0.5, v43
	v_sub_f16_e32 v43, v33, v34
	v_fma_f16 v70, v43, s2, v41
	v_fma_f16 v41, v43, s3, v41
	v_add_f16_e32 v43, v74, v33
	v_add_f16_e32 v33, v33, v34
	;; [unrolled: 1-line block ×4, first 2 shown]
	v_fma_f16 v33, v33, -0.5, v74
	v_sub_f16_e32 v34, v40, v42
	v_add_f16_e32 v42, v45, v47
	v_lshrrev_b32_e32 v78, 16, v44
	v_fma_f16 v40, v34, s3, v33
	v_fma_f16 v33, v34, s2, v33
	v_add_f16_e32 v34, v44, v45
	v_fma_f16 v42, v42, -0.5, v44
	v_sub_f16_e32 v44, v31, v32
	v_fma_f16 v74, v44, s2, v42
	v_fma_f16 v42, v44, s3, v42
	v_add_f16_e32 v44, v78, v31
	v_add_f16_e32 v31, v31, v32
	;; [unrolled: 1-line block ×4, first 2 shown]
	v_fma_f16 v31, v31, -0.5, v78
	v_sub_f16_e32 v32, v45, v47
	v_add_f16_e32 v47, v46, v48
	v_lshrrev_b32_e32 v82, 16, v37
	v_fma_f16 v45, v32, s3, v31
	v_fma_f16 v31, v32, s2, v31
	v_add_f16_e32 v32, v37, v46
	v_fma_f16 v37, v47, -0.5, v37
	v_sub_f16_e32 v47, v35, v36
	v_fma_f16 v76, v47, s2, v37
	v_fma_f16 v37, v47, s3, v37
	v_add_f16_e32 v47, v82, v35
	v_add_f16_e32 v35, v35, v36
	;; [unrolled: 1-line block ×3, first 2 shown]
	v_fma_f16 v35, v35, -0.5, v82
	v_sub_f16_e32 v36, v46, v48
	v_pack_b32_f16 v25, v25, v29
	v_fma_f16 v46, v36, s3, v35
	v_fma_f16 v35, v36, s2, v35
	s_barrier
	v_pack_b32_f16 v36, v56, v57
	v_pack_b32_f16 v38, v71, v38
	ds_write_b32 v59, v25 offset:136
	v_pack_b32_f16 v25, v30, v54
	v_pack_b32_f16 v29, v72, v39
	ds_write2_b32 v59, v36, v38 offset1:17
	ds_write2_b32 v60, v25, v29 offset1:17
	v_pack_b32_f16 v25, v26, v27
	ds_write_b32 v60, v25 offset:136
	v_pack_b32_f16 v25, v28, v43
	v_pack_b32_f16 v26, v70, v40
	ds_write2_b32 v61, v25, v26 offset1:17
	v_pack_b32_f16 v25, v41, v33
	ds_write_b32 v61, v25 offset:136
	v_pack_b32_f16 v25, v34, v44
	v_pack_b32_f16 v26, v74, v45
	v_add_f16_e32 v32, v32, v48
	ds_write2_b32 v62, v25, v26 offset1:17
	v_pack_b32_f16 v25, v42, v31
	ds_write_b32 v62, v25 offset:136
	v_pack_b32_f16 v25, v32, v47
	v_pack_b32_f16 v26, v76, v46
	ds_write2_b32 v63, v25, v26 offset1:17
	v_pack_b32_f16 v25, v37, v35
	ds_write_b32 v63, v25 offset:136
	s_waitcnt lgkmcnt(0)
	s_barrier
	ds_read2_b32 v[25:26], v58 offset1:85
	ds_read2_b32 v[27:28], v58 offset0:170 offset1:255
	ds_read2_b32 v[29:30], v55 offset0:126 offset1:211
	;; [unrolled: 1-line block ×5, first 2 shown]
	s_waitcnt lgkmcnt(4)
	v_lshrrev_b32_e32 v40, 16, v28
	v_mul_f16_sdwa v62, v0, v40 dst_sel:DWORD dst_unused:UNUSED_PAD src0_sel:WORD_1 src1_sel:DWORD
	s_waitcnt lgkmcnt(3)
	v_lshrrev_b32_e32 v41, 16, v29
	v_fma_f16 v62, v0, v28, v62
	v_mul_f16_sdwa v28, v0, v28 dst_sel:DWORD dst_unused:UNUSED_PAD src0_sel:WORD_1 src1_sel:DWORD
	v_fma_f16 v0, v0, v40, -v28
	v_mul_f16_sdwa v28, v1, v41 dst_sel:DWORD dst_unused:UNUSED_PAD src0_sel:WORD_1 src1_sel:DWORD
	s_waitcnt lgkmcnt(2)
	v_lshrrev_b32_e32 v42, 16, v32
	v_fma_f16 v28, v1, v29, v28
	v_mul_f16_sdwa v29, v1, v29 dst_sel:DWORD dst_unused:UNUSED_PAD src0_sel:WORD_1 src1_sel:DWORD
	v_fma_f16 v1, v1, v41, -v29
	v_mul_f16_sdwa v29, v2, v42 dst_sel:DWORD dst_unused:UNUSED_PAD src0_sel:WORD_1 src1_sel:DWORD
	s_waitcnt lgkmcnt(1)
	v_lshrrev_b32_e32 v43, 16, v33
	v_fma_f16 v29, v2, v32, v29
	v_mul_f16_sdwa v32, v2, v32 dst_sel:DWORD dst_unused:UNUSED_PAD src0_sel:WORD_1 src1_sel:DWORD
	ds_read2_b32 v[37:38], v50 offset0:82 offset1:167
	v_fma_f16 v2, v2, v42, -v32
	v_mul_f16_sdwa v32, v3, v43 dst_sel:DWORD dst_unused:UNUSED_PAD src0_sel:WORD_1 src1_sel:DWORD
	s_waitcnt lgkmcnt(1)
	v_lshrrev_b32_e32 v45, 16, v35
	v_fma_f16 v32, v3, v33, v32
	v_mul_f16_sdwa v33, v3, v33 dst_sel:DWORD dst_unused:UNUSED_PAD src0_sel:WORD_1 src1_sel:DWORD
	v_fma_f16 v3, v3, v43, -v33
	v_mul_f16_sdwa v33, v4, v45 dst_sel:DWORD dst_unused:UNUSED_PAD src0_sel:WORD_1 src1_sel:DWORD
	v_lshrrev_b32_e32 v46, 16, v30
	v_fma_f16 v33, v4, v35, v33
	v_mul_f16_sdwa v35, v4, v35 dst_sel:DWORD dst_unused:UNUSED_PAD src0_sel:WORD_1 src1_sel:DWORD
	v_fma_f16 v4, v4, v45, -v35
	v_mul_f16_sdwa v35, v5, v46 dst_sel:DWORD dst_unused:UNUSED_PAD src0_sel:WORD_1 src1_sel:DWORD
	s_waitcnt lgkmcnt(0)
	v_lshrrev_b32_e32 v47, 16, v37
	v_fma_f16 v35, v5, v30, v35
	v_mul_f16_sdwa v30, v5, v30 dst_sel:DWORD dst_unused:UNUSED_PAD src0_sel:WORD_1 src1_sel:DWORD
	v_fma_f16 v5, v5, v46, -v30
	v_mul_f16_sdwa v30, v6, v47 dst_sel:DWORD dst_unused:UNUSED_PAD src0_sel:WORD_1 src1_sel:DWORD
	v_lshrrev_b32_e32 v48, 16, v34
	v_fma_f16 v30, v6, v37, v30
	v_mul_f16_sdwa v37, v6, v37 dst_sel:DWORD dst_unused:UNUSED_PAD src0_sel:WORD_1 src1_sel:DWORD
	v_fma_f16 v6, v6, v47, -v37
	v_mul_f16_sdwa v37, v7, v48 dst_sel:DWORD dst_unused:UNUSED_PAD src0_sel:WORD_1 src1_sel:DWORD
	v_lshrrev_b32_e32 v57, 16, v36
	v_fma_f16 v37, v7, v34, v37
	v_mul_f16_sdwa v34, v7, v34 dst_sel:DWORD dst_unused:UNUSED_PAD src0_sel:WORD_1 src1_sel:DWORD
	ds_read_b32 v54, v58 offset:4760
	v_fma_f16 v7, v7, v48, -v34
	v_mul_f16_sdwa v34, v8, v57 dst_sel:DWORD dst_unused:UNUSED_PAD src0_sel:WORD_1 src1_sel:DWORD
	v_lshrrev_b32_e32 v59, 16, v31
	v_fma_f16 v34, v8, v36, v34
	v_mul_f16_sdwa v36, v8, v36 dst_sel:DWORD dst_unused:UNUSED_PAD src0_sel:WORD_1 src1_sel:DWORD
	v_fma_f16 v8, v8, v57, -v36
	v_mul_f16_sdwa v36, v9, v59 dst_sel:DWORD dst_unused:UNUSED_PAD src0_sel:WORD_1 src1_sel:DWORD
	v_lshrrev_b32_e32 v60, 16, v38
	v_fma_f16 v36, v9, v31, v36
	v_mul_f16_sdwa v31, v9, v31 dst_sel:DWORD dst_unused:UNUSED_PAD src0_sel:WORD_1 src1_sel:DWORD
	v_add_f16_e32 v41, v28, v29
	v_fma_f16 v9, v9, v59, -v31
	v_mul_f16_sdwa v31, v10, v60 dst_sel:DWORD dst_unused:UNUSED_PAD src0_sel:WORD_1 src1_sel:DWORD
	v_fma_f16 v41, v41, -0.5, v25
	v_sub_f16_e32 v42, v0, v3
	s_mov_b32 s3, 0xbb9c
	s_movk_i32 s5, 0x3b9c
	s_waitcnt lgkmcnt(0)
	v_lshrrev_b32_e32 v61, 16, v54
	v_fma_f16 v31, v10, v38, v31
	v_mul_f16_sdwa v38, v10, v38 dst_sel:DWORD dst_unused:UNUSED_PAD src0_sel:WORD_1 src1_sel:DWORD
	v_fma_f16 v43, v42, s3, v41
	v_sub_f16_e32 v45, v1, v2
	s_mov_b32 s2, 0xb8b4
	v_sub_f16_e32 v46, v62, v28
	v_sub_f16_e32 v47, v32, v29
	v_fma_f16 v41, v42, s5, v41
	s_movk_i32 s14, 0x38b4
	v_fma_f16 v10, v10, v60, -v38
	v_mul_f16_sdwa v38, v11, v61 dst_sel:DWORD dst_unused:UNUSED_PAD src0_sel:WORD_1 src1_sel:DWORD
	v_mul_f16_sdwa v40, v11, v54 dst_sel:DWORD dst_unused:UNUSED_PAD src0_sel:WORD_1 src1_sel:DWORD
	v_fma_f16 v43, v45, s2, v43
	v_add_f16_e32 v46, v46, v47
	s_movk_i32 s4, 0x34f2
	v_fma_f16 v41, v45, s14, v41
	v_fma_f16 v38, v11, v54, v38
	v_fma_f16 v11, v11, v61, -v40
	v_add_f16_e32 v40, v25, v62
	v_fma_f16 v43, v46, s4, v43
	v_fma_f16 v41, v46, s4, v41
	v_add_f16_e32 v46, v62, v32
	v_lshrrev_b32_e32 v39, 16, v25
	v_add_f16_e32 v40, v40, v28
	v_fma_f16 v25, v46, -0.5, v25
	v_add_f16_e32 v40, v40, v29
	v_fma_f16 v46, v45, s5, v25
	v_sub_f16_e32 v47, v28, v62
	v_sub_f16_e32 v48, v29, v32
	v_fma_f16 v25, v45, s3, v25
	v_add_f16_e32 v45, v1, v2
	v_add_f16_e32 v40, v40, v32
	v_fma_f16 v46, v42, s2, v46
	v_add_f16_e32 v47, v47, v48
	v_fma_f16 v25, v42, s14, v25
	v_fma_f16 v45, v45, -0.5, v39
	v_sub_f16_e32 v32, v62, v32
	v_fma_f16 v46, v47, s4, v46
	v_fma_f16 v25, v47, s4, v25
	;; [unrolled: 1-line block ×3, first 2 shown]
	v_sub_f16_e32 v28, v28, v29
	v_fma_f16 v29, v28, s14, v47
	v_sub_f16_e32 v47, v0, v1
	v_sub_f16_e32 v48, v3, v2
	v_fma_f16 v45, v32, s3, v45
	v_add_f16_e32 v42, v39, v0
	v_add_f16_e32 v47, v47, v48
	v_fma_f16 v45, v28, s2, v45
	v_add_f16_e32 v42, v42, v1
	v_fma_f16 v29, v47, s4, v29
	v_fma_f16 v45, v47, s4, v45
	v_add_f16_e32 v47, v0, v3
	v_add_f16_e32 v42, v42, v2
	v_fma_f16 v39, v47, -0.5, v39
	v_add_f16_e32 v42, v42, v3
	v_fma_f16 v47, v28, s3, v39
	v_sub_f16_e32 v0, v1, v0
	v_sub_f16_e32 v1, v2, v3
	v_add_f16_e32 v3, v35, v30
	v_fma_f16 v47, v32, s14, v47
	v_add_f16_e32 v0, v0, v1
	v_fma_f16 v2, v28, s5, v39
	v_fma_f16 v3, v3, -0.5, v26
	v_sub_f16_e32 v28, v4, v7
	v_fma_f16 v1, v0, s4, v47
	v_fma_f16 v2, v32, s2, v2
	v_fma_f16 v32, v28, s3, v3
	v_sub_f16_e32 v39, v5, v6
	v_sub_f16_e32 v47, v33, v35
	v_sub_f16_e32 v48, v37, v30
	v_fma_f16 v3, v28, s5, v3
	v_fma_f16 v32, v39, s2, v32
	v_add_f16_e32 v47, v47, v48
	v_fma_f16 v3, v39, s14, v3
	v_fma_f16 v32, v47, s4, v32
	;; [unrolled: 1-line block ×3, first 2 shown]
	v_add_f16_e32 v47, v33, v37
	v_lshrrev_b32_e32 v44, 16, v26
	v_fma_f16 v0, v0, s4, v2
	v_add_f16_e32 v2, v26, v33
	v_fma_f16 v26, v47, -0.5, v26
	v_add_f16_e32 v2, v2, v35
	v_fma_f16 v47, v39, s5, v26
	v_fma_f16 v26, v39, s3, v26
	v_add_f16_e32 v39, v5, v6
	v_add_f16_e32 v2, v2, v30
	v_sub_f16_e32 v48, v35, v33
	v_sub_f16_e32 v54, v30, v37
	v_fma_f16 v39, v39, -0.5, v44
	v_sub_f16_e32 v33, v33, v37
	v_add_f16_e32 v2, v2, v37
	v_fma_f16 v47, v28, s2, v47
	v_add_f16_e32 v48, v48, v54
	v_fma_f16 v26, v28, s14, v26
	v_fma_f16 v37, v33, s5, v39
	v_sub_f16_e32 v30, v35, v30
	v_fma_f16 v47, v48, s4, v47
	v_fma_f16 v26, v48, s4, v26
	;; [unrolled: 1-line block ×3, first 2 shown]
	v_sub_f16_e32 v37, v4, v5
	v_sub_f16_e32 v48, v7, v6
	v_fma_f16 v39, v33, s3, v39
	v_add_f16_e32 v28, v44, v4
	v_add_f16_e32 v37, v37, v48
	v_fma_f16 v39, v30, s2, v39
	v_add_f16_e32 v28, v28, v5
	v_fma_f16 v35, v37, s4, v35
	v_fma_f16 v37, v37, s4, v39
	v_add_f16_e32 v39, v4, v7
	v_add_f16_e32 v28, v28, v6
	v_fma_f16 v39, v39, -0.5, v44
	v_add_f16_e32 v28, v28, v7
	v_fma_f16 v44, v30, s3, v39
	v_sub_f16_e32 v4, v5, v4
	v_sub_f16_e32 v5, v6, v7
	v_add_f16_e32 v7, v36, v31
	v_fma_f16 v44, v33, s14, v44
	v_add_f16_e32 v4, v4, v5
	v_fma_f16 v6, v30, s5, v39
	v_fma_f16 v7, v7, -0.5, v27
	v_sub_f16_e32 v30, v8, v11
	v_fma_f16 v5, v4, s4, v44
	v_fma_f16 v6, v33, s2, v6
	;; [unrolled: 1-line block ×3, first 2 shown]
	v_sub_f16_e32 v39, v9, v10
	v_sub_f16_e32 v44, v34, v36
	;; [unrolled: 1-line block ×3, first 2 shown]
	v_fma_f16 v7, v30, s5, v7
	v_fma_f16 v33, v39, s2, v33
	v_add_f16_e32 v44, v44, v48
	v_fma_f16 v7, v39, s14, v7
	v_fma_f16 v33, v44, s4, v33
	;; [unrolled: 1-line block ×3, first 2 shown]
	v_add_f16_e32 v44, v34, v38
	v_lshrrev_b32_e32 v56, 16, v27
	v_fma_f16 v4, v4, s4, v6
	v_add_f16_e32 v6, v27, v34
	v_fma_f16 v27, v44, -0.5, v27
	v_add_f16_e32 v6, v6, v36
	v_fma_f16 v44, v39, s5, v27
	v_fma_f16 v27, v39, s3, v27
	v_add_f16_e32 v39, v9, v10
	v_add_f16_e32 v6, v6, v31
	v_sub_f16_e32 v48, v36, v34
	v_sub_f16_e32 v54, v31, v38
	v_fma_f16 v39, v39, -0.5, v56
	v_sub_f16_e32 v34, v34, v38
	v_add_f16_e32 v6, v6, v38
	v_fma_f16 v44, v30, s2, v44
	v_add_f16_e32 v48, v48, v54
	v_fma_f16 v27, v30, s14, v27
	v_fma_f16 v38, v34, s5, v39
	v_sub_f16_e32 v31, v36, v31
	v_fma_f16 v44, v48, s4, v44
	v_fma_f16 v27, v48, s4, v27
	;; [unrolled: 1-line block ×3, first 2 shown]
	v_sub_f16_e32 v38, v8, v9
	v_sub_f16_e32 v48, v11, v10
	v_fma_f16 v39, v34, s3, v39
	v_add_f16_e32 v38, v38, v48
	v_fma_f16 v39, v31, s2, v39
	v_add_f16_e32 v30, v56, v8
	v_fma_f16 v36, v38, s4, v36
	v_fma_f16 v38, v38, s4, v39
	v_add_f16_e32 v39, v8, v11
	v_add_f16_e32 v30, v30, v9
	v_fma_f16 v39, v39, -0.5, v56
	v_add_f16_e32 v30, v30, v10
	v_fma_f16 v48, v31, s3, v39
	v_sub_f16_e32 v8, v9, v8
	v_sub_f16_e32 v9, v10, v11
	v_fma_f16 v10, v31, s5, v39
	v_pack_b32_f16 v1, v46, v1
	v_pack_b32_f16 v0, v25, v0
	v_fma_f16 v48, v34, s14, v48
	v_add_f16_e32 v8, v8, v9
	v_fma_f16 v10, v34, s2, v10
	s_barrier
	ds_write2_b32 v64, v1, v0 offset0:102 offset1:153
	v_pack_b32_f16 v0, v41, v45
	v_add_f16_e32 v30, v30, v11
	v_fma_f16 v9, v8, s4, v48
	v_fma_f16 v8, v8, s4, v10
	v_pack_b32_f16 v10, v40, v42
	v_pack_b32_f16 v11, v43, v29
	ds_write_b32 v64, v0 offset:816
	v_pack_b32_f16 v0, v2, v28
	v_pack_b32_f16 v1, v32, v35
	ds_write2_b32 v64, v10, v11 offset1:51
	ds_write2_b32 v65, v0, v1 offset1:51
	v_pack_b32_f16 v0, v47, v5
	v_pack_b32_f16 v1, v26, v4
	ds_write2_b32 v65, v0, v1 offset0:102 offset1:153
	v_pack_b32_f16 v0, v3, v37
	ds_write_b32 v65, v0 offset:816
	v_pack_b32_f16 v0, v6, v30
	v_pack_b32_f16 v1, v33, v36
	ds_write2_b32 v66, v0, v1 offset1:51
	v_pack_b32_f16 v0, v44, v9
	v_pack_b32_f16 v1, v27, v8
	ds_write2_b32 v66, v0, v1 offset0:102 offset1:153
	v_pack_b32_f16 v0, v7, v38
	ds_write_b32 v66, v0 offset:816
	s_waitcnt lgkmcnt(0)
	s_barrier
	ds_read2_b32 v[0:1], v58 offset1:85
	ds_read2_b32 v[2:3], v58 offset0:170 offset1:255
	ds_read2_b32 v[4:5], v55 offset0:126 offset1:211
	;; [unrolled: 1-line block ×5, first 2 shown]
	s_waitcnt lgkmcnt(4)
	v_lshrrev_b32_e32 v28, 16, v3
	v_mul_f16_sdwa v43, v12, v28 dst_sel:DWORD dst_unused:UNUSED_PAD src0_sel:WORD_1 src1_sel:DWORD
	s_waitcnt lgkmcnt(3)
	v_lshrrev_b32_e32 v29, 16, v4
	v_fma_f16 v43, v12, v3, v43
	v_mul_f16_sdwa v3, v12, v3 dst_sel:DWORD dst_unused:UNUSED_PAD src0_sel:WORD_1 src1_sel:DWORD
	v_fma_f16 v3, v12, v28, -v3
	v_mul_f16_sdwa v12, v13, v29 dst_sel:DWORD dst_unused:UNUSED_PAD src0_sel:WORD_1 src1_sel:DWORD
	s_waitcnt lgkmcnt(2)
	v_lshrrev_b32_e32 v30, 16, v7
	v_fma_f16 v12, v13, v4, v12
	v_mul_f16_sdwa v4, v13, v4 dst_sel:DWORD dst_unused:UNUSED_PAD src0_sel:WORD_1 src1_sel:DWORD
	v_fma_f16 v4, v13, v29, -v4
	v_mul_f16_sdwa v13, v14, v30 dst_sel:DWORD dst_unused:UNUSED_PAD src0_sel:WORD_1 src1_sel:DWORD
	s_waitcnt lgkmcnt(1)
	v_lshrrev_b32_e32 v31, 16, v8
	v_fma_f16 v13, v14, v7, v13
	v_mul_f16_sdwa v7, v14, v7 dst_sel:DWORD dst_unused:UNUSED_PAD src0_sel:WORD_1 src1_sel:DWORD
	ds_read2_b32 v[25:26], v50 offset0:82 offset1:167
	v_fma_f16 v7, v14, v30, -v7
	v_mul_f16_sdwa v14, v15, v31 dst_sel:DWORD dst_unused:UNUSED_PAD src0_sel:WORD_1 src1_sel:DWORD
	s_waitcnt lgkmcnt(1)
	v_lshrrev_b32_e32 v33, 16, v10
	v_fma_f16 v14, v15, v8, v14
	v_mul_f16_sdwa v8, v15, v8 dst_sel:DWORD dst_unused:UNUSED_PAD src0_sel:WORD_1 src1_sel:DWORD
	v_fma_f16 v8, v15, v31, -v8
	v_mul_f16_sdwa v15, v16, v33 dst_sel:DWORD dst_unused:UNUSED_PAD src0_sel:WORD_1 src1_sel:DWORD
	v_lshrrev_b32_e32 v34, 16, v5
	v_fma_f16 v15, v16, v10, v15
	v_mul_f16_sdwa v10, v16, v10 dst_sel:DWORD dst_unused:UNUSED_PAD src0_sel:WORD_1 src1_sel:DWORD
	v_fma_f16 v10, v16, v33, -v10
	v_mul_f16_sdwa v16, v17, v34 dst_sel:DWORD dst_unused:UNUSED_PAD src0_sel:WORD_1 src1_sel:DWORD
	s_waitcnt lgkmcnt(0)
	v_lshrrev_b32_e32 v35, 16, v25
	v_fma_f16 v16, v17, v5, v16
	v_mul_f16_sdwa v5, v17, v5 dst_sel:DWORD dst_unused:UNUSED_PAD src0_sel:WORD_1 src1_sel:DWORD
	v_fma_f16 v5, v17, v34, -v5
	v_mul_f16_sdwa v17, v18, v35 dst_sel:DWORD dst_unused:UNUSED_PAD src0_sel:WORD_1 src1_sel:DWORD
	v_lshrrev_b32_e32 v36, 16, v9
	v_fma_f16 v17, v18, v25, v17
	v_mul_f16_sdwa v25, v18, v25 dst_sel:DWORD dst_unused:UNUSED_PAD src0_sel:WORD_1 src1_sel:DWORD
	v_fma_f16 v18, v18, v35, -v25
	v_mul_f16_sdwa v25, v19, v36 dst_sel:DWORD dst_unused:UNUSED_PAD src0_sel:WORD_1 src1_sel:DWORD
	v_lshrrev_b32_e32 v39, 16, v11
	v_fma_f16 v25, v19, v9, v25
	v_mul_f16_sdwa v9, v19, v9 dst_sel:DWORD dst_unused:UNUSED_PAD src0_sel:WORD_1 src1_sel:DWORD
	ds_read_b32 v37, v58 offset:4760
	v_fma_f16 v9, v19, v36, -v9
	v_mul_f16_sdwa v19, v20, v39 dst_sel:DWORD dst_unused:UNUSED_PAD src0_sel:WORD_1 src1_sel:DWORD
	v_lshrrev_b32_e32 v40, 16, v6
	v_fma_f16 v19, v20, v11, v19
	v_mul_f16_sdwa v11, v20, v11 dst_sel:DWORD dst_unused:UNUSED_PAD src0_sel:WORD_1 src1_sel:DWORD
	v_fma_f16 v11, v20, v39, -v11
	v_mul_f16_sdwa v20, v21, v40 dst_sel:DWORD dst_unused:UNUSED_PAD src0_sel:WORD_1 src1_sel:DWORD
	v_lshrrev_b32_e32 v41, 16, v26
	v_fma_f16 v20, v21, v6, v20
	v_mul_f16_sdwa v6, v21, v6 dst_sel:DWORD dst_unused:UNUSED_PAD src0_sel:WORD_1 src1_sel:DWORD
	v_add_f16_e32 v29, v12, v13
	v_fma_f16 v6, v21, v40, -v6
	v_mul_f16_sdwa v21, v22, v41 dst_sel:DWORD dst_unused:UNUSED_PAD src0_sel:WORD_1 src1_sel:DWORD
	v_fma_f16 v29, v29, -0.5, v0
	v_sub_f16_e32 v30, v3, v8
	s_waitcnt lgkmcnt(0)
	v_lshrrev_b32_e32 v42, 16, v37
	v_fma_f16 v21, v22, v26, v21
	v_mul_f16_sdwa v26, v22, v26 dst_sel:DWORD dst_unused:UNUSED_PAD src0_sel:WORD_1 src1_sel:DWORD
	v_fma_f16 v31, v30, s3, v29
	v_sub_f16_e32 v33, v4, v7
	v_sub_f16_e32 v34, v43, v12
	;; [unrolled: 1-line block ×3, first 2 shown]
	v_fma_f16 v29, v30, s5, v29
	v_fma_f16 v22, v22, v41, -v26
	v_mul_f16_sdwa v26, v23, v42 dst_sel:DWORD dst_unused:UNUSED_PAD src0_sel:WORD_1 src1_sel:DWORD
	v_mul_f16_sdwa v28, v23, v37 dst_sel:DWORD dst_unused:UNUSED_PAD src0_sel:WORD_1 src1_sel:DWORD
	v_fma_f16 v31, v33, s2, v31
	v_add_f16_e32 v34, v34, v35
	v_fma_f16 v29, v33, s14, v29
	v_fma_f16 v26, v23, v37, v26
	v_fma_f16 v23, v23, v42, -v28
	v_add_f16_e32 v28, v0, v43
	v_fma_f16 v31, v34, s4, v31
	v_fma_f16 v29, v34, s4, v29
	v_add_f16_e32 v34, v43, v14
	v_lshrrev_b32_e32 v27, 16, v0
	v_add_f16_e32 v28, v28, v12
	v_fma_f16 v0, v34, -0.5, v0
	v_add_f16_e32 v28, v28, v13
	v_fma_f16 v34, v33, s5, v0
	v_sub_f16_e32 v35, v12, v43
	v_sub_f16_e32 v36, v13, v14
	v_fma_f16 v0, v33, s3, v0
	v_add_f16_e32 v33, v4, v7
	v_add_f16_e32 v28, v28, v14
	v_fma_f16 v34, v30, s2, v34
	v_add_f16_e32 v35, v35, v36
	v_fma_f16 v0, v30, s14, v0
	v_fma_f16 v33, v33, -0.5, v27
	v_sub_f16_e32 v14, v43, v14
	v_fma_f16 v34, v35, s4, v34
	v_fma_f16 v0, v35, s4, v0
	;; [unrolled: 1-line block ×3, first 2 shown]
	v_sub_f16_e32 v12, v12, v13
	v_fma_f16 v13, v12, s14, v35
	v_sub_f16_e32 v35, v3, v4
	v_sub_f16_e32 v36, v8, v7
	v_fma_f16 v33, v14, s3, v33
	v_add_f16_e32 v30, v27, v3
	v_add_f16_e32 v35, v35, v36
	v_fma_f16 v33, v12, s2, v33
	v_add_f16_e32 v30, v30, v4
	v_fma_f16 v13, v35, s4, v13
	v_fma_f16 v33, v35, s4, v33
	v_add_f16_e32 v35, v3, v8
	v_add_f16_e32 v30, v30, v7
	v_fma_f16 v27, v35, -0.5, v27
	v_add_f16_e32 v30, v30, v8
	v_fma_f16 v35, v12, s3, v27
	v_sub_f16_e32 v3, v4, v3
	v_sub_f16_e32 v4, v7, v8
	v_add_f16_e32 v8, v16, v17
	v_fma_f16 v35, v14, s14, v35
	v_add_f16_e32 v3, v3, v4
	v_fma_f16 v7, v12, s5, v27
	v_fma_f16 v8, v8, -0.5, v1
	v_sub_f16_e32 v12, v10, v9
	v_fma_f16 v4, v3, s4, v35
	v_fma_f16 v7, v14, s2, v7
	;; [unrolled: 1-line block ×3, first 2 shown]
	v_sub_f16_e32 v27, v5, v18
	v_sub_f16_e32 v35, v15, v16
	;; [unrolled: 1-line block ×3, first 2 shown]
	v_fma_f16 v8, v12, s5, v8
	v_fma_f16 v14, v27, s2, v14
	v_add_f16_e32 v35, v35, v36
	v_fma_f16 v8, v27, s14, v8
	v_fma_f16 v14, v35, s4, v14
	;; [unrolled: 1-line block ×3, first 2 shown]
	v_add_f16_e32 v35, v15, v25
	v_lshrrev_b32_e32 v32, 16, v1
	v_fma_f16 v3, v3, s4, v7
	v_add_f16_e32 v7, v1, v15
	v_fma_f16 v1, v35, -0.5, v1
	v_add_f16_e32 v7, v7, v16
	v_fma_f16 v35, v27, s5, v1
	v_fma_f16 v1, v27, s3, v1
	v_add_f16_e32 v27, v5, v18
	v_add_f16_e32 v7, v7, v17
	v_sub_f16_e32 v36, v16, v15
	v_sub_f16_e32 v37, v17, v25
	v_fma_f16 v27, v27, -0.5, v32
	v_sub_f16_e32 v15, v15, v25
	v_add_f16_e32 v7, v7, v25
	v_fma_f16 v35, v12, s2, v35
	v_add_f16_e32 v36, v36, v37
	v_fma_f16 v1, v12, s14, v1
	v_fma_f16 v25, v15, s5, v27
	v_sub_f16_e32 v16, v16, v17
	v_fma_f16 v35, v36, s4, v35
	v_fma_f16 v1, v36, s4, v1
	;; [unrolled: 1-line block ×3, first 2 shown]
	v_sub_f16_e32 v25, v10, v5
	v_sub_f16_e32 v36, v9, v18
	v_fma_f16 v27, v15, s3, v27
	v_add_f16_e32 v25, v25, v36
	v_fma_f16 v27, v16, s2, v27
	v_add_f16_e32 v12, v32, v10
	v_fma_f16 v17, v25, s4, v17
	v_fma_f16 v25, v25, s4, v27
	v_add_f16_e32 v27, v10, v9
	v_add_f16_e32 v12, v12, v5
	v_fma_f16 v27, v27, -0.5, v32
	v_add_f16_e32 v12, v12, v18
	v_fma_f16 v32, v16, s3, v27
	v_sub_f16_e32 v5, v5, v10
	v_fma_f16 v10, v16, s5, v27
	v_add_f16_e32 v12, v12, v9
	v_fma_f16 v32, v15, s14, v32
	v_sub_f16_e32 v9, v18, v9
	v_fma_f16 v10, v15, s2, v10
	v_add_f16_e32 v15, v20, v21
	v_add_f16_e32 v5, v5, v9
	v_fma_f16 v15, v15, -0.5, v2
	v_sub_f16_e32 v16, v11, v23
	v_fma_f16 v9, v5, s4, v32
	v_fma_f16 v18, v16, s3, v15
	v_sub_f16_e32 v27, v6, v22
	v_sub_f16_e32 v32, v19, v20
	;; [unrolled: 1-line block ×3, first 2 shown]
	v_fma_f16 v15, v16, s5, v15
	v_fma_f16 v18, v27, s2, v18
	v_add_f16_e32 v32, v32, v36
	v_fma_f16 v15, v27, s14, v15
	v_fma_f16 v18, v32, s4, v18
	;; [unrolled: 1-line block ×3, first 2 shown]
	v_add_f16_e32 v32, v19, v26
	v_lshrrev_b32_e32 v38, 16, v2
	v_fma_f16 v5, v5, s4, v10
	v_add_f16_e32 v10, v2, v19
	v_fma_f16 v2, v32, -0.5, v2
	v_add_f16_e32 v10, v10, v20
	v_fma_f16 v32, v27, s5, v2
	v_fma_f16 v2, v27, s3, v2
	v_add_f16_e32 v27, v6, v22
	v_add_f16_e32 v10, v10, v21
	v_sub_f16_e32 v36, v20, v19
	v_sub_f16_e32 v37, v21, v26
	v_fma_f16 v27, v27, -0.5, v38
	v_sub_f16_e32 v19, v19, v26
	v_add_f16_e32 v10, v10, v26
	v_fma_f16 v32, v16, s2, v32
	v_add_f16_e32 v36, v36, v37
	v_fma_f16 v2, v16, s14, v2
	v_fma_f16 v26, v19, s5, v27
	v_sub_f16_e32 v20, v20, v21
	v_fma_f16 v32, v36, s4, v32
	v_fma_f16 v2, v36, s4, v2
	;; [unrolled: 1-line block ×3, first 2 shown]
	v_sub_f16_e32 v26, v11, v6
	v_sub_f16_e32 v36, v23, v22
	v_fma_f16 v27, v19, s3, v27
	v_add_f16_e32 v26, v26, v36
	v_fma_f16 v27, v20, s2, v27
	v_fma_f16 v21, v26, s4, v21
	v_fma_f16 v26, v26, s4, v27
	v_add_f16_e32 v27, v11, v23
	v_add_f16_e32 v16, v38, v11
	v_fma_f16 v27, v27, -0.5, v38
	v_add_f16_e32 v16, v16, v6
	v_fma_f16 v36, v20, s3, v27
	v_sub_f16_e32 v6, v6, v11
	v_sub_f16_e32 v11, v22, v23
	v_fma_f16 v20, v20, s5, v27
	v_fma_f16 v36, v19, s14, v36
	v_add_f16_e32 v6, v6, v11
	v_fma_f16 v19, v19, s2, v20
	v_fma_f16 v11, v6, s4, v36
	;; [unrolled: 1-line block ×3, first 2 shown]
	v_pack_b32_f16 v19, v28, v30
	ds_write_b32 v67, v19
	v_pack_b32_f16 v13, v31, v13
	v_pack_b32_f16 v4, v34, v4
	v_add_u32_e32 v19, 0x3fc, v53
	ds_write2_b32 v19, v13, v4 offset1:255
	v_pack_b32_f16 v0, v0, v3
	v_pack_b32_f16 v3, v29, v33
	v_add_u32_e32 v4, 0xbf4, v53
	v_add_f16_e32 v16, v16, v22
	ds_write2_b32 v4, v0, v3 offset1:255
	v_pack_b32_f16 v0, v7, v12
	v_pack_b32_f16 v3, v14, v17
	;; [unrolled: 1-line block ×3, first 2 shown]
	v_add_u32_e32 v7, 0x3fc, v69
	v_add_f16_e32 v16, v16, v23
	ds_write2_b32 v7, v3, v4 offset1:255
	v_pack_b32_f16 v1, v1, v5
	v_pack_b32_f16 v3, v8, v25
	v_add_u32_e32 v4, 0xbf4, v69
	ds_write2_b32 v4, v1, v3 offset1:255
	v_pack_b32_f16 v1, v10, v16
	ds_write2_b32 v53, v0, v1 offset0:85 offset1:170
	v_pack_b32_f16 v0, v18, v21
	v_pack_b32_f16 v1, v32, v11
	v_add_u32_e32 v3, 0x3fc, v68
	ds_write2_b32 v3, v0, v1 offset1:255
	v_pack_b32_f16 v0, v2, v6
	v_pack_b32_f16 v1, v15, v26
	v_add_u32_e32 v2, 0xbf4, v68
	ds_write2_b32 v2, v0, v1 offset1:255
	s_waitcnt lgkmcnt(0)
	s_barrier
	s_and_b64 exec, exec, s[0:1]
	s_cbranch_execz .LBB0_15
; %bb.14:
	global_load_dword v8, v51, s[6:7]
	v_mad_u64_u32 v[1:2], s[0:1], s10, v24, 0
	v_mad_u64_u32 v[3:4], s[0:1], s8, v52, 0
	ds_read_b32 v9, v67
	s_mov_b32 s14, 0xe68019b3
	v_mad_u64_u32 v[5:6], s[0:1], s11, v24, v[2:3]
	s_mov_b32 s15, 0x3f49b34c
	v_mov_b32_e32 v10, s13
	v_mad_u64_u32 v[6:7], s[0:1], s9, v52, v[4:5]
	s_waitcnt lgkmcnt(0)
	v_lshrrev_b32_e32 v7, 16, v9
	v_mov_b32_e32 v2, v5
	v_mov_b32_e32 v4, v6
	v_lshlrev_b64 v[1:2], 2, v[1:2]
	v_lshlrev_b64 v[3:4], 2, v[3:4]
	s_movk_i32 s16, 0x1ff
	s_movk_i32 s10, 0xffe
	v_mov_b32_e32 v0, 0x7c00
	s_movk_i32 s18, 0x40f
	s_mov_b32 s17, 0x8000
	s_waitcnt vmcnt(0)
	v_mul_f16_sdwa v5, v7, v8 dst_sel:DWORD dst_unused:UNUSED_PAD src0_sel:DWORD src1_sel:WORD_1
	v_fma_f16 v5, v9, v8, v5
	v_mul_f16_sdwa v6, v9, v8 dst_sel:DWORD dst_unused:UNUSED_PAD src0_sel:DWORD src1_sel:WORD_1
	v_cvt_f32_f16_e32 v5, v5
	v_fma_f16 v6, v8, v7, -v6
	v_cvt_f32_f16_e32 v7, v6
	v_add_co_u32_e32 v9, vcc, s12, v1
	v_cvt_f64_f32_e32 v[5:6], v5
	v_cvt_f64_f32_e32 v[7:8], v7
	v_addc_co_u32_e32 v10, vcc, v10, v2, vcc
	v_mul_f64 v[5:6], v[5:6], s[14:15]
	v_mul_f64 v[1:2], v[7:8], s[14:15]
	v_add_co_u32_e32 v3, vcc, v9, v3
	v_addc_co_u32_e32 v4, vcc, v10, v4, vcc
	v_and_or_b32 v5, v6, s16, v5
	v_and_or_b32 v1, v2, s16, v1
	v_cmp_ne_u32_e32 vcc, 0, v5
	v_lshrrev_b32_e32 v7, 8, v6
	v_bfe_u32 v8, v6, 20, 11
	v_cndmask_b32_e64 v5, 0, 1, vcc
	v_cmp_ne_u32_e32 vcc, 0, v1
	v_lshrrev_b32_e32 v9, 8, v2
	v_bfe_u32 v10, v2, 20, 11
	v_sub_u32_e32 v11, 0x3f1, v8
	v_cndmask_b32_e64 v1, 0, 1, vcc
	v_and_or_b32 v5, v7, s10, v5
	v_sub_u32_e32 v12, 0x3f1, v10
	v_med3_i32 v7, v11, 0, 13
	v_and_or_b32 v1, v9, s10, v1
	v_or_b32_e32 v11, 0x1000, v5
	v_add_u32_e32 v8, 0xfffffc10, v8
	v_med3_i32 v9, v12, 0, 13
	v_cmp_ne_u32_e32 vcc, 0, v5
	v_or_b32_e32 v13, 0x1000, v1
	v_lshrrev_b32_e32 v15, v7, v11
	v_add_u32_e32 v10, 0xfffffc10, v10
	v_lshl_or_b32 v12, v8, 12, v5
	v_cndmask_b32_e64 v5, 0, 1, vcc
	v_cmp_ne_u32_e32 vcc, 0, v1
	v_lshrrev_b32_e32 v16, v9, v13
	v_lshlrev_b32_e32 v7, v7, v15
	v_lshl_or_b32 v14, v10, 12, v1
	v_cndmask_b32_e64 v1, 0, 1, vcc
	v_lshlrev_b32_e32 v9, v9, v16
	v_cmp_ne_u32_e32 vcc, v7, v11
	v_cndmask_b32_e64 v7, 0, 1, vcc
	v_cmp_ne_u32_e32 vcc, v9, v13
	v_cndmask_b32_e64 v9, 0, 1, vcc
	v_or_b32_e32 v7, v15, v7
	v_cmp_gt_i32_e32 vcc, 1, v8
	v_cndmask_b32_e32 v7, v12, v7, vcc
	v_or_b32_e32 v9, v16, v9
	v_cmp_gt_i32_e32 vcc, 1, v10
	v_and_b32_e32 v11, 7, v7
	v_cndmask_b32_e32 v9, v14, v9, vcc
	v_cmp_lt_i32_e32 vcc, 5, v11
	v_cmp_eq_u32_e64 s[0:1], 3, v11
	v_lshrrev_b32_e32 v7, 2, v7
	v_and_b32_e32 v12, 7, v9
	s_or_b64 vcc, s[0:1], vcc
	v_cmp_lt_i32_e64 s[2:3], 5, v12
	v_cmp_eq_u32_e64 s[4:5], 3, v12
	v_addc_co_u32_e32 v7, vcc, 0, v7, vcc
	v_lshrrev_b32_e32 v9, 2, v9
	s_or_b64 vcc, s[4:5], s[2:3]
	v_addc_co_u32_e32 v9, vcc, 0, v9, vcc
	v_cmp_gt_i32_e32 vcc, 31, v8
	v_cndmask_b32_e32 v7, v0, v7, vcc
	v_cmp_gt_i32_e32 vcc, 31, v10
	v_lshl_or_b32 v5, v5, 9, v0
	v_cndmask_b32_e32 v9, v0, v9, vcc
	v_cmp_eq_u32_e32 vcc, s18, v8
	v_lshrrev_b32_e32 v6, 16, v6
	v_lshl_or_b32 v1, v1, 9, v0
	v_cndmask_b32_e32 v5, v7, v5, vcc
	v_cmp_eq_u32_e32 vcc, s18, v10
	v_lshrrev_b32_e32 v2, 16, v2
	v_cndmask_b32_e32 v1, v9, v1, vcc
	v_and_or_b32 v5, v6, s17, v5
	v_and_or_b32 v1, v2, s17, v1
	v_and_b32_e32 v2, 0xffff, v5
	v_lshl_or_b32 v1, v1, 16, v2
	global_store_dword v[3:4], v1, off
	global_load_dword v5, v51, s[6:7] offset:300
	ds_read2_b32 v[1:2], v53 offset0:75 offset1:150
	s_mul_i32 s0, s9, 0x12c
	s_mul_hi_u32 s9, s8, 0x12c
	s_mulk_i32 s8, 0x12c
	s_add_i32 s9, s9, s0
	s_waitcnt lgkmcnt(0)
	v_lshrrev_b32_e32 v6, 16, v1
	v_add_co_u32_e32 v3, vcc, s8, v3
	s_waitcnt vmcnt(0)
	v_mul_f16_sdwa v7, v6, v5 dst_sel:DWORD dst_unused:UNUSED_PAD src0_sel:DWORD src1_sel:WORD_1
	v_fma_f16 v7, v1, v5, v7
	v_mul_f16_sdwa v1, v1, v5 dst_sel:DWORD dst_unused:UNUSED_PAD src0_sel:DWORD src1_sel:WORD_1
	v_cvt_f32_f16_e32 v7, v7
	v_fma_f16 v1, v5, v6, -v1
	v_cvt_f32_f16_e32 v1, v1
	v_cvt_f64_f32_e32 v[5:6], v7
	v_cvt_f64_f32_e32 v[7:8], v1
	v_mov_b32_e32 v1, s9
	v_mul_f64 v[5:6], v[5:6], s[14:15]
	v_addc_co_u32_e32 v4, vcc, v4, v1, vcc
	v_mul_f64 v[7:8], v[7:8], s[14:15]
	v_and_or_b32 v1, v6, s16, v5
	v_cmp_ne_u32_e32 vcc, 0, v1
	v_lshrrev_b32_e32 v5, 8, v6
	v_and_or_b32 v7, v8, s16, v7
	v_bfe_u32 v9, v6, 20, 11
	v_cndmask_b32_e64 v1, 0, 1, vcc
	v_cmp_ne_u32_e32 vcc, 0, v7
	v_lshrrev_b32_e32 v10, 8, v8
	v_bfe_u32 v11, v8, 20, 11
	v_sub_u32_e32 v12, 0x3f1, v9
	v_cndmask_b32_e64 v7, 0, 1, vcc
	v_and_or_b32 v1, v5, s10, v1
	v_sub_u32_e32 v13, 0x3f1, v11
	v_med3_i32 v5, v12, 0, 13
	v_and_or_b32 v7, v10, s10, v7
	v_or_b32_e32 v12, 0x1000, v1
	v_add_u32_e32 v9, 0xfffffc10, v9
	v_med3_i32 v10, v13, 0, 13
	v_cmp_ne_u32_e32 vcc, 0, v1
	v_or_b32_e32 v14, 0x1000, v7
	v_lshrrev_b32_e32 v16, v5, v12
	v_add_u32_e32 v11, 0xfffffc10, v11
	v_lshl_or_b32 v13, v9, 12, v1
	v_cndmask_b32_e64 v1, 0, 1, vcc
	v_cmp_ne_u32_e32 vcc, 0, v7
	v_lshrrev_b32_e32 v17, v10, v14
	v_lshlrev_b32_e32 v5, v5, v16
	v_lshl_or_b32 v15, v11, 12, v7
	v_cndmask_b32_e64 v7, 0, 1, vcc
	v_lshlrev_b32_e32 v10, v10, v17
	v_cmp_ne_u32_e32 vcc, v5, v12
	v_cndmask_b32_e64 v5, 0, 1, vcc
	v_cmp_ne_u32_e32 vcc, v10, v14
	v_cndmask_b32_e64 v10, 0, 1, vcc
	v_or_b32_e32 v5, v16, v5
	v_cmp_gt_i32_e32 vcc, 1, v9
	v_cndmask_b32_e32 v5, v13, v5, vcc
	v_or_b32_e32 v10, v17, v10
	v_cmp_gt_i32_e32 vcc, 1, v11
	v_and_b32_e32 v12, 7, v5
	v_cndmask_b32_e32 v10, v15, v10, vcc
	v_cmp_lt_i32_e32 vcc, 5, v12
	v_cmp_eq_u32_e64 s[0:1], 3, v12
	v_lshrrev_b32_e32 v5, 2, v5
	v_and_b32_e32 v13, 7, v10
	s_or_b64 vcc, s[0:1], vcc
	v_cmp_lt_i32_e64 s[2:3], 5, v13
	v_cmp_eq_u32_e64 s[4:5], 3, v13
	v_addc_co_u32_e32 v5, vcc, 0, v5, vcc
	v_lshrrev_b32_e32 v10, 2, v10
	s_or_b64 vcc, s[4:5], s[2:3]
	v_addc_co_u32_e32 v10, vcc, 0, v10, vcc
	v_cmp_gt_i32_e32 vcc, 31, v9
	v_cndmask_b32_e32 v5, v0, v5, vcc
	v_cmp_gt_i32_e32 vcc, 31, v11
	v_lshl_or_b32 v1, v1, 9, v0
	v_cndmask_b32_e32 v10, v0, v10, vcc
	v_cmp_eq_u32_e32 vcc, s18, v9
	v_lshrrev_b32_e32 v6, 16, v6
	v_lshl_or_b32 v7, v7, 9, v0
	v_cndmask_b32_e32 v1, v5, v1, vcc
	v_cmp_eq_u32_e32 vcc, s18, v11
	v_lshrrev_b32_e32 v8, 16, v8
	v_cndmask_b32_e32 v5, v10, v7, vcc
	v_and_or_b32 v1, v6, s17, v1
	v_and_or_b32 v5, v8, s17, v5
	v_and_b32_e32 v1, 0xffff, v1
	v_lshl_or_b32 v1, v5, 16, v1
	global_store_dword v[3:4], v1, off
	global_load_dword v1, v51, s[6:7] offset:600
	v_lshrrev_b32_e32 v5, 16, v2
	v_mov_b32_e32 v7, s9
	v_add_co_u32_e32 v3, vcc, s8, v3
	v_addc_co_u32_e32 v4, vcc, v4, v7, vcc
	s_waitcnt vmcnt(0)
	v_mul_f16_sdwa v6, v5, v1 dst_sel:DWORD dst_unused:UNUSED_PAD src0_sel:DWORD src1_sel:WORD_1
	v_fma_f16 v6, v2, v1, v6
	v_mul_f16_sdwa v2, v2, v1 dst_sel:DWORD dst_unused:UNUSED_PAD src0_sel:DWORD src1_sel:WORD_1
	v_cvt_f32_f16_e32 v6, v6
	v_fma_f16 v1, v1, v5, -v2
	v_cvt_f32_f16_e32 v5, v1
	v_cvt_f64_f32_e32 v[1:2], v6
	v_cvt_f64_f32_e32 v[5:6], v5
	v_mul_f64 v[1:2], v[1:2], s[14:15]
	v_mul_f64 v[5:6], v[5:6], s[14:15]
	v_and_or_b32 v1, v2, s16, v1
	v_cmp_ne_u32_e32 vcc, 0, v1
	v_and_or_b32 v5, v6, s16, v5
	v_lshrrev_b32_e32 v7, 8, v2
	v_bfe_u32 v8, v2, 20, 11
	v_cndmask_b32_e64 v1, 0, 1, vcc
	v_cmp_ne_u32_e32 vcc, 0, v5
	v_lshrrev_b32_e32 v9, 8, v6
	v_bfe_u32 v10, v6, 20, 11
	v_sub_u32_e32 v11, 0x3f1, v8
	v_cndmask_b32_e64 v5, 0, 1, vcc
	v_and_or_b32 v1, v7, s10, v1
	v_sub_u32_e32 v12, 0x3f1, v10
	v_med3_i32 v7, v11, 0, 13
	v_and_or_b32 v5, v9, s10, v5
	v_or_b32_e32 v11, 0x1000, v1
	v_add_u32_e32 v8, 0xfffffc10, v8
	v_med3_i32 v9, v12, 0, 13
	v_cmp_ne_u32_e32 vcc, 0, v1
	v_or_b32_e32 v13, 0x1000, v5
	v_lshrrev_b32_e32 v15, v7, v11
	v_add_u32_e32 v10, 0xfffffc10, v10
	v_lshl_or_b32 v12, v8, 12, v1
	v_cndmask_b32_e64 v1, 0, 1, vcc
	v_cmp_ne_u32_e32 vcc, 0, v5
	v_lshrrev_b32_e32 v16, v9, v13
	v_lshlrev_b32_e32 v7, v7, v15
	v_lshl_or_b32 v14, v10, 12, v5
	v_cndmask_b32_e64 v5, 0, 1, vcc
	v_lshlrev_b32_e32 v9, v9, v16
	v_cmp_ne_u32_e32 vcc, v7, v11
	v_cndmask_b32_e64 v7, 0, 1, vcc
	v_cmp_ne_u32_e32 vcc, v9, v13
	v_cndmask_b32_e64 v9, 0, 1, vcc
	v_or_b32_e32 v7, v15, v7
	v_cmp_gt_i32_e32 vcc, 1, v8
	v_cndmask_b32_e32 v7, v12, v7, vcc
	v_or_b32_e32 v9, v16, v9
	v_cmp_gt_i32_e32 vcc, 1, v10
	v_and_b32_e32 v11, 7, v7
	v_cndmask_b32_e32 v9, v14, v9, vcc
	v_cmp_lt_i32_e32 vcc, 5, v11
	v_cmp_eq_u32_e64 s[0:1], 3, v11
	v_lshrrev_b32_e32 v7, 2, v7
	v_and_b32_e32 v12, 7, v9
	s_or_b64 vcc, s[0:1], vcc
	v_cmp_lt_i32_e64 s[2:3], 5, v12
	v_cmp_eq_u32_e64 s[4:5], 3, v12
	v_addc_co_u32_e32 v7, vcc, 0, v7, vcc
	v_lshrrev_b32_e32 v9, 2, v9
	s_or_b64 vcc, s[4:5], s[2:3]
	v_addc_co_u32_e32 v9, vcc, 0, v9, vcc
	v_cmp_gt_i32_e32 vcc, 31, v8
	v_cndmask_b32_e32 v7, v0, v7, vcc
	v_cmp_gt_i32_e32 vcc, 31, v10
	v_lshl_or_b32 v1, v1, 9, v0
	v_cndmask_b32_e32 v9, v0, v9, vcc
	v_cmp_eq_u32_e32 vcc, s18, v8
	v_lshrrev_b32_e32 v2, 16, v2
	v_lshl_or_b32 v5, v5, 9, v0
	v_cndmask_b32_e32 v1, v7, v1, vcc
	v_cmp_eq_u32_e32 vcc, s18, v10
	v_lshrrev_b32_e32 v6, 16, v6
	v_cndmask_b32_e32 v5, v9, v5, vcc
	v_and_or_b32 v1, v2, s17, v1
	v_and_or_b32 v2, v6, s17, v5
	v_and_b32_e32 v1, 0xffff, v1
	v_lshl_or_b32 v1, v2, 16, v1
	global_store_dword v[3:4], v1, off
	global_load_dword v5, v51, s[6:7] offset:900
	v_add_u32_e32 v1, 0x200, v53
	ds_read2_b32 v[1:2], v1 offset0:97 offset1:172
	v_add_co_u32_e32 v3, vcc, s8, v3
	s_waitcnt lgkmcnt(0)
	v_lshrrev_b32_e32 v6, 16, v1
	s_waitcnt vmcnt(0)
	v_mul_f16_sdwa v7, v6, v5 dst_sel:DWORD dst_unused:UNUSED_PAD src0_sel:DWORD src1_sel:WORD_1
	v_fma_f16 v7, v1, v5, v7
	v_mul_f16_sdwa v1, v1, v5 dst_sel:DWORD dst_unused:UNUSED_PAD src0_sel:DWORD src1_sel:WORD_1
	v_cvt_f32_f16_e32 v7, v7
	v_fma_f16 v1, v5, v6, -v1
	v_cvt_f32_f16_e32 v1, v1
	v_cvt_f64_f32_e32 v[5:6], v7
	v_cvt_f64_f32_e32 v[7:8], v1
	v_mov_b32_e32 v1, s9
	v_mul_f64 v[5:6], v[5:6], s[14:15]
	v_addc_co_u32_e32 v4, vcc, v4, v1, vcc
	v_mul_f64 v[7:8], v[7:8], s[14:15]
	v_and_or_b32 v1, v6, s16, v5
	v_cmp_ne_u32_e32 vcc, 0, v1
	v_lshrrev_b32_e32 v5, 8, v6
	v_and_or_b32 v7, v8, s16, v7
	v_bfe_u32 v9, v6, 20, 11
	v_cndmask_b32_e64 v1, 0, 1, vcc
	v_cmp_ne_u32_e32 vcc, 0, v7
	v_lshrrev_b32_e32 v10, 8, v8
	v_bfe_u32 v11, v8, 20, 11
	v_sub_u32_e32 v12, 0x3f1, v9
	v_cndmask_b32_e64 v7, 0, 1, vcc
	v_and_or_b32 v1, v5, s10, v1
	v_sub_u32_e32 v13, 0x3f1, v11
	v_med3_i32 v5, v12, 0, 13
	v_and_or_b32 v7, v10, s10, v7
	v_or_b32_e32 v12, 0x1000, v1
	v_add_u32_e32 v9, 0xfffffc10, v9
	v_med3_i32 v10, v13, 0, 13
	v_cmp_ne_u32_e32 vcc, 0, v1
	v_or_b32_e32 v14, 0x1000, v7
	v_lshrrev_b32_e32 v16, v5, v12
	v_add_u32_e32 v11, 0xfffffc10, v11
	v_lshl_or_b32 v13, v9, 12, v1
	v_cndmask_b32_e64 v1, 0, 1, vcc
	v_cmp_ne_u32_e32 vcc, 0, v7
	v_lshrrev_b32_e32 v17, v10, v14
	v_lshlrev_b32_e32 v5, v5, v16
	v_lshl_or_b32 v15, v11, 12, v7
	v_cndmask_b32_e64 v7, 0, 1, vcc
	v_lshlrev_b32_e32 v10, v10, v17
	v_cmp_ne_u32_e32 vcc, v5, v12
	v_cndmask_b32_e64 v5, 0, 1, vcc
	v_cmp_ne_u32_e32 vcc, v10, v14
	v_cndmask_b32_e64 v10, 0, 1, vcc
	v_or_b32_e32 v5, v16, v5
	v_cmp_gt_i32_e32 vcc, 1, v9
	v_cndmask_b32_e32 v5, v13, v5, vcc
	v_or_b32_e32 v10, v17, v10
	v_cmp_gt_i32_e32 vcc, 1, v11
	v_and_b32_e32 v12, 7, v5
	v_cndmask_b32_e32 v10, v15, v10, vcc
	v_cmp_lt_i32_e32 vcc, 5, v12
	v_cmp_eq_u32_e64 s[0:1], 3, v12
	v_lshrrev_b32_e32 v5, 2, v5
	v_and_b32_e32 v13, 7, v10
	s_or_b64 vcc, s[0:1], vcc
	v_cmp_lt_i32_e64 s[2:3], 5, v13
	v_cmp_eq_u32_e64 s[4:5], 3, v13
	v_addc_co_u32_e32 v5, vcc, 0, v5, vcc
	v_lshrrev_b32_e32 v10, 2, v10
	s_or_b64 vcc, s[4:5], s[2:3]
	v_addc_co_u32_e32 v10, vcc, 0, v10, vcc
	v_cmp_gt_i32_e32 vcc, 31, v9
	v_cndmask_b32_e32 v5, v0, v5, vcc
	v_cmp_gt_i32_e32 vcc, 31, v11
	v_lshl_or_b32 v1, v1, 9, v0
	v_cndmask_b32_e32 v10, v0, v10, vcc
	v_cmp_eq_u32_e32 vcc, s18, v9
	v_lshrrev_b32_e32 v6, 16, v6
	v_lshl_or_b32 v7, v7, 9, v0
	v_cndmask_b32_e32 v1, v5, v1, vcc
	v_cmp_eq_u32_e32 vcc, s18, v11
	v_lshrrev_b32_e32 v8, 16, v8
	v_cndmask_b32_e32 v5, v10, v7, vcc
	v_and_or_b32 v1, v6, s17, v1
	v_and_or_b32 v5, v8, s17, v5
	v_and_b32_e32 v1, 0xffff, v1
	v_lshl_or_b32 v1, v5, 16, v1
	global_store_dword v[3:4], v1, off
	global_load_dword v1, v51, s[6:7] offset:1200
	v_lshrrev_b32_e32 v5, 16, v2
	v_mov_b32_e32 v7, s9
	v_add_co_u32_e32 v3, vcc, s8, v3
	v_addc_co_u32_e32 v4, vcc, v4, v7, vcc
	s_waitcnt vmcnt(0)
	v_mul_f16_sdwa v6, v5, v1 dst_sel:DWORD dst_unused:UNUSED_PAD src0_sel:DWORD src1_sel:WORD_1
	v_fma_f16 v6, v2, v1, v6
	v_mul_f16_sdwa v2, v2, v1 dst_sel:DWORD dst_unused:UNUSED_PAD src0_sel:DWORD src1_sel:WORD_1
	v_cvt_f32_f16_e32 v6, v6
	v_fma_f16 v1, v1, v5, -v2
	v_cvt_f32_f16_e32 v5, v1
	v_cvt_f64_f32_e32 v[1:2], v6
	v_cvt_f64_f32_e32 v[5:6], v5
	v_mul_f64 v[1:2], v[1:2], s[14:15]
	v_mul_f64 v[5:6], v[5:6], s[14:15]
	v_and_or_b32 v1, v2, s16, v1
	v_cmp_ne_u32_e32 vcc, 0, v1
	v_and_or_b32 v5, v6, s16, v5
	v_lshrrev_b32_e32 v7, 8, v2
	v_bfe_u32 v8, v2, 20, 11
	v_cndmask_b32_e64 v1, 0, 1, vcc
	v_cmp_ne_u32_e32 vcc, 0, v5
	v_lshrrev_b32_e32 v9, 8, v6
	v_bfe_u32 v10, v6, 20, 11
	v_sub_u32_e32 v11, 0x3f1, v8
	v_cndmask_b32_e64 v5, 0, 1, vcc
	v_and_or_b32 v1, v7, s10, v1
	v_sub_u32_e32 v12, 0x3f1, v10
	v_med3_i32 v7, v11, 0, 13
	v_and_or_b32 v5, v9, s10, v5
	v_or_b32_e32 v11, 0x1000, v1
	v_add_u32_e32 v8, 0xfffffc10, v8
	v_med3_i32 v9, v12, 0, 13
	v_cmp_ne_u32_e32 vcc, 0, v1
	v_or_b32_e32 v13, 0x1000, v5
	v_lshrrev_b32_e32 v15, v7, v11
	v_add_u32_e32 v10, 0xfffffc10, v10
	v_lshl_or_b32 v12, v8, 12, v1
	v_cndmask_b32_e64 v1, 0, 1, vcc
	v_cmp_ne_u32_e32 vcc, 0, v5
	v_lshrrev_b32_e32 v16, v9, v13
	v_lshlrev_b32_e32 v7, v7, v15
	v_lshl_or_b32 v14, v10, 12, v5
	v_cndmask_b32_e64 v5, 0, 1, vcc
	v_lshlrev_b32_e32 v9, v9, v16
	v_cmp_ne_u32_e32 vcc, v7, v11
	v_cndmask_b32_e64 v7, 0, 1, vcc
	v_cmp_ne_u32_e32 vcc, v9, v13
	v_cndmask_b32_e64 v9, 0, 1, vcc
	v_or_b32_e32 v7, v15, v7
	v_cmp_gt_i32_e32 vcc, 1, v8
	v_cndmask_b32_e32 v7, v12, v7, vcc
	v_or_b32_e32 v9, v16, v9
	v_cmp_gt_i32_e32 vcc, 1, v10
	v_and_b32_e32 v11, 7, v7
	v_cndmask_b32_e32 v9, v14, v9, vcc
	v_cmp_lt_i32_e32 vcc, 5, v11
	v_cmp_eq_u32_e64 s[0:1], 3, v11
	v_lshrrev_b32_e32 v7, 2, v7
	v_and_b32_e32 v12, 7, v9
	s_or_b64 vcc, s[0:1], vcc
	v_cmp_lt_i32_e64 s[2:3], 5, v12
	v_cmp_eq_u32_e64 s[4:5], 3, v12
	v_addc_co_u32_e32 v7, vcc, 0, v7, vcc
	v_lshrrev_b32_e32 v9, 2, v9
	s_or_b64 vcc, s[4:5], s[2:3]
	v_addc_co_u32_e32 v9, vcc, 0, v9, vcc
	v_cmp_gt_i32_e32 vcc, 31, v8
	v_cndmask_b32_e32 v7, v0, v7, vcc
	v_cmp_gt_i32_e32 vcc, 31, v10
	v_lshl_or_b32 v1, v1, 9, v0
	v_cndmask_b32_e32 v9, v0, v9, vcc
	v_cmp_eq_u32_e32 vcc, s18, v8
	v_lshrrev_b32_e32 v2, 16, v2
	v_lshl_or_b32 v5, v5, 9, v0
	v_cndmask_b32_e32 v1, v7, v1, vcc
	v_cmp_eq_u32_e32 vcc, s18, v10
	v_lshrrev_b32_e32 v6, 16, v6
	v_cndmask_b32_e32 v5, v9, v5, vcc
	v_and_or_b32 v1, v2, s17, v1
	v_and_or_b32 v2, v6, s17, v5
	v_and_b32_e32 v1, 0xffff, v1
	v_lshl_or_b32 v1, v2, 16, v1
	global_store_dword v[3:4], v1, off
	global_load_dword v5, v51, s[6:7] offset:1500
	v_add_u32_e32 v1, 0x400, v53
	ds_read2_b32 v[1:2], v1 offset0:119 offset1:194
	v_add_co_u32_e32 v3, vcc, s8, v3
	s_waitcnt lgkmcnt(0)
	v_lshrrev_b32_e32 v6, 16, v1
	s_waitcnt vmcnt(0)
	v_mul_f16_sdwa v7, v6, v5 dst_sel:DWORD dst_unused:UNUSED_PAD src0_sel:DWORD src1_sel:WORD_1
	v_fma_f16 v7, v1, v5, v7
	v_mul_f16_sdwa v1, v1, v5 dst_sel:DWORD dst_unused:UNUSED_PAD src0_sel:DWORD src1_sel:WORD_1
	v_cvt_f32_f16_e32 v7, v7
	v_fma_f16 v1, v5, v6, -v1
	v_cvt_f32_f16_e32 v1, v1
	v_cvt_f64_f32_e32 v[5:6], v7
	v_cvt_f64_f32_e32 v[7:8], v1
	v_mov_b32_e32 v1, s9
	v_mul_f64 v[5:6], v[5:6], s[14:15]
	v_addc_co_u32_e32 v4, vcc, v4, v1, vcc
	v_mul_f64 v[7:8], v[7:8], s[14:15]
	v_and_or_b32 v1, v6, s16, v5
	v_cmp_ne_u32_e32 vcc, 0, v1
	v_lshrrev_b32_e32 v5, 8, v6
	v_and_or_b32 v7, v8, s16, v7
	v_bfe_u32 v9, v6, 20, 11
	v_cndmask_b32_e64 v1, 0, 1, vcc
	v_cmp_ne_u32_e32 vcc, 0, v7
	v_lshrrev_b32_e32 v10, 8, v8
	v_bfe_u32 v11, v8, 20, 11
	v_sub_u32_e32 v12, 0x3f1, v9
	v_cndmask_b32_e64 v7, 0, 1, vcc
	v_and_or_b32 v1, v5, s10, v1
	v_sub_u32_e32 v13, 0x3f1, v11
	v_med3_i32 v5, v12, 0, 13
	v_and_or_b32 v7, v10, s10, v7
	v_or_b32_e32 v12, 0x1000, v1
	v_add_u32_e32 v9, 0xfffffc10, v9
	v_med3_i32 v10, v13, 0, 13
	v_cmp_ne_u32_e32 vcc, 0, v1
	v_or_b32_e32 v14, 0x1000, v7
	v_lshrrev_b32_e32 v16, v5, v12
	v_add_u32_e32 v11, 0xfffffc10, v11
	v_lshl_or_b32 v13, v9, 12, v1
	v_cndmask_b32_e64 v1, 0, 1, vcc
	v_cmp_ne_u32_e32 vcc, 0, v7
	v_lshrrev_b32_e32 v17, v10, v14
	v_lshlrev_b32_e32 v5, v5, v16
	v_lshl_or_b32 v15, v11, 12, v7
	v_cndmask_b32_e64 v7, 0, 1, vcc
	v_lshlrev_b32_e32 v10, v10, v17
	v_cmp_ne_u32_e32 vcc, v5, v12
	v_cndmask_b32_e64 v5, 0, 1, vcc
	v_cmp_ne_u32_e32 vcc, v10, v14
	v_cndmask_b32_e64 v10, 0, 1, vcc
	v_or_b32_e32 v5, v16, v5
	v_cmp_gt_i32_e32 vcc, 1, v9
	v_cndmask_b32_e32 v5, v13, v5, vcc
	v_or_b32_e32 v10, v17, v10
	v_cmp_gt_i32_e32 vcc, 1, v11
	v_and_b32_e32 v12, 7, v5
	v_cndmask_b32_e32 v10, v15, v10, vcc
	v_cmp_lt_i32_e32 vcc, 5, v12
	v_cmp_eq_u32_e64 s[0:1], 3, v12
	v_lshrrev_b32_e32 v5, 2, v5
	v_and_b32_e32 v13, 7, v10
	s_or_b64 vcc, s[0:1], vcc
	v_cmp_lt_i32_e64 s[2:3], 5, v13
	v_cmp_eq_u32_e64 s[4:5], 3, v13
	v_addc_co_u32_e32 v5, vcc, 0, v5, vcc
	v_lshrrev_b32_e32 v10, 2, v10
	s_or_b64 vcc, s[4:5], s[2:3]
	v_addc_co_u32_e32 v10, vcc, 0, v10, vcc
	v_cmp_gt_i32_e32 vcc, 31, v9
	v_cndmask_b32_e32 v5, v0, v5, vcc
	v_cmp_gt_i32_e32 vcc, 31, v11
	v_lshl_or_b32 v1, v1, 9, v0
	v_cndmask_b32_e32 v10, v0, v10, vcc
	v_cmp_eq_u32_e32 vcc, s18, v9
	v_lshrrev_b32_e32 v6, 16, v6
	v_lshl_or_b32 v7, v7, 9, v0
	v_cndmask_b32_e32 v1, v5, v1, vcc
	v_cmp_eq_u32_e32 vcc, s18, v11
	v_lshrrev_b32_e32 v8, 16, v8
	v_cndmask_b32_e32 v5, v10, v7, vcc
	v_and_or_b32 v1, v6, s17, v1
	v_and_or_b32 v5, v8, s17, v5
	v_and_b32_e32 v1, 0xffff, v1
	v_lshl_or_b32 v1, v5, 16, v1
	global_store_dword v[3:4], v1, off
	global_load_dword v1, v51, s[6:7] offset:1800
	v_lshrrev_b32_e32 v5, 16, v2
	v_mov_b32_e32 v7, s9
	v_add_co_u32_e32 v3, vcc, s8, v3
	v_addc_co_u32_e32 v4, vcc, v4, v7, vcc
	s_waitcnt vmcnt(0)
	v_mul_f16_sdwa v6, v5, v1 dst_sel:DWORD dst_unused:UNUSED_PAD src0_sel:DWORD src1_sel:WORD_1
	v_fma_f16 v6, v2, v1, v6
	v_mul_f16_sdwa v2, v2, v1 dst_sel:DWORD dst_unused:UNUSED_PAD src0_sel:DWORD src1_sel:WORD_1
	v_cvt_f32_f16_e32 v6, v6
	v_fma_f16 v1, v1, v5, -v2
	v_cvt_f32_f16_e32 v5, v1
	v_cvt_f64_f32_e32 v[1:2], v6
	v_cvt_f64_f32_e32 v[5:6], v5
	v_mul_f64 v[1:2], v[1:2], s[14:15]
	v_mul_f64 v[5:6], v[5:6], s[14:15]
	v_and_or_b32 v1, v2, s16, v1
	v_cmp_ne_u32_e32 vcc, 0, v1
	v_and_or_b32 v5, v6, s16, v5
	v_lshrrev_b32_e32 v7, 8, v2
	v_bfe_u32 v8, v2, 20, 11
	v_cndmask_b32_e64 v1, 0, 1, vcc
	v_cmp_ne_u32_e32 vcc, 0, v5
	v_lshrrev_b32_e32 v9, 8, v6
	v_bfe_u32 v10, v6, 20, 11
	v_sub_u32_e32 v11, 0x3f1, v8
	v_cndmask_b32_e64 v5, 0, 1, vcc
	v_and_or_b32 v1, v7, s10, v1
	v_sub_u32_e32 v12, 0x3f1, v10
	v_med3_i32 v7, v11, 0, 13
	v_and_or_b32 v5, v9, s10, v5
	v_or_b32_e32 v11, 0x1000, v1
	v_add_u32_e32 v8, 0xfffffc10, v8
	v_med3_i32 v9, v12, 0, 13
	v_cmp_ne_u32_e32 vcc, 0, v1
	v_or_b32_e32 v13, 0x1000, v5
	v_lshrrev_b32_e32 v15, v7, v11
	v_add_u32_e32 v10, 0xfffffc10, v10
	v_lshl_or_b32 v12, v8, 12, v1
	v_cndmask_b32_e64 v1, 0, 1, vcc
	v_cmp_ne_u32_e32 vcc, 0, v5
	v_lshrrev_b32_e32 v16, v9, v13
	v_lshlrev_b32_e32 v7, v7, v15
	v_lshl_or_b32 v14, v10, 12, v5
	v_cndmask_b32_e64 v5, 0, 1, vcc
	v_lshlrev_b32_e32 v9, v9, v16
	v_cmp_ne_u32_e32 vcc, v7, v11
	v_cndmask_b32_e64 v7, 0, 1, vcc
	v_cmp_ne_u32_e32 vcc, v9, v13
	v_cndmask_b32_e64 v9, 0, 1, vcc
	v_or_b32_e32 v7, v15, v7
	v_cmp_gt_i32_e32 vcc, 1, v8
	v_cndmask_b32_e32 v7, v12, v7, vcc
	v_or_b32_e32 v9, v16, v9
	v_cmp_gt_i32_e32 vcc, 1, v10
	v_and_b32_e32 v11, 7, v7
	v_cndmask_b32_e32 v9, v14, v9, vcc
	v_cmp_lt_i32_e32 vcc, 5, v11
	v_cmp_eq_u32_e64 s[0:1], 3, v11
	v_lshrrev_b32_e32 v7, 2, v7
	v_and_b32_e32 v12, 7, v9
	s_or_b64 vcc, s[0:1], vcc
	v_cmp_lt_i32_e64 s[2:3], 5, v12
	v_cmp_eq_u32_e64 s[4:5], 3, v12
	v_addc_co_u32_e32 v7, vcc, 0, v7, vcc
	v_lshrrev_b32_e32 v9, 2, v9
	s_or_b64 vcc, s[4:5], s[2:3]
	v_addc_co_u32_e32 v9, vcc, 0, v9, vcc
	v_cmp_gt_i32_e32 vcc, 31, v8
	v_cndmask_b32_e32 v7, v0, v7, vcc
	v_cmp_gt_i32_e32 vcc, 31, v10
	v_lshl_or_b32 v1, v1, 9, v0
	v_cndmask_b32_e32 v9, v0, v9, vcc
	v_cmp_eq_u32_e32 vcc, s18, v8
	v_lshrrev_b32_e32 v2, 16, v2
	v_lshl_or_b32 v5, v5, 9, v0
	v_cndmask_b32_e32 v1, v7, v1, vcc
	v_cmp_eq_u32_e32 vcc, s18, v10
	v_lshrrev_b32_e32 v6, 16, v6
	v_cndmask_b32_e32 v5, v9, v5, vcc
	v_and_or_b32 v1, v2, s17, v1
	v_and_or_b32 v2, v6, s17, v5
	v_and_b32_e32 v1, 0xffff, v1
	v_lshl_or_b32 v1, v2, 16, v1
	global_store_dword v[3:4], v1, off
	global_load_dword v5, v51, s[6:7] offset:2100
	v_add_u32_e32 v9, 0x800, v53
	ds_read2_b32 v[1:2], v9 offset0:13 offset1:88
	v_add_co_u32_e32 v3, vcc, s8, v3
	s_waitcnt lgkmcnt(0)
	v_lshrrev_b32_e32 v6, 16, v1
	s_waitcnt vmcnt(0)
	v_mul_f16_sdwa v7, v6, v5 dst_sel:DWORD dst_unused:UNUSED_PAD src0_sel:DWORD src1_sel:WORD_1
	v_fma_f16 v7, v1, v5, v7
	v_mul_f16_sdwa v1, v1, v5 dst_sel:DWORD dst_unused:UNUSED_PAD src0_sel:DWORD src1_sel:WORD_1
	v_cvt_f32_f16_e32 v7, v7
	v_fma_f16 v1, v5, v6, -v1
	v_cvt_f32_f16_e32 v1, v1
	v_cvt_f64_f32_e32 v[5:6], v7
	v_cvt_f64_f32_e32 v[7:8], v1
	v_mov_b32_e32 v1, s9
	v_mul_f64 v[5:6], v[5:6], s[14:15]
	v_addc_co_u32_e32 v4, vcc, v4, v1, vcc
	v_mul_f64 v[7:8], v[7:8], s[14:15]
	v_and_or_b32 v1, v6, s16, v5
	v_cmp_ne_u32_e32 vcc, 0, v1
	v_lshrrev_b32_e32 v5, 8, v6
	v_and_or_b32 v7, v8, s16, v7
	v_bfe_u32 v10, v6, 20, 11
	v_cndmask_b32_e64 v1, 0, 1, vcc
	v_cmp_ne_u32_e32 vcc, 0, v7
	v_lshrrev_b32_e32 v11, 8, v8
	v_bfe_u32 v12, v8, 20, 11
	v_sub_u32_e32 v13, 0x3f1, v10
	v_cndmask_b32_e64 v7, 0, 1, vcc
	v_and_or_b32 v1, v5, s10, v1
	v_sub_u32_e32 v14, 0x3f1, v12
	v_med3_i32 v5, v13, 0, 13
	v_and_or_b32 v7, v11, s10, v7
	v_or_b32_e32 v13, 0x1000, v1
	v_add_u32_e32 v10, 0xfffffc10, v10
	v_med3_i32 v11, v14, 0, 13
	v_cmp_ne_u32_e32 vcc, 0, v1
	v_or_b32_e32 v15, 0x1000, v7
	v_lshrrev_b32_e32 v17, v5, v13
	v_add_u32_e32 v12, 0xfffffc10, v12
	v_lshl_or_b32 v14, v10, 12, v1
	v_cndmask_b32_e64 v1, 0, 1, vcc
	v_cmp_ne_u32_e32 vcc, 0, v7
	v_lshrrev_b32_e32 v18, v11, v15
	v_lshlrev_b32_e32 v5, v5, v17
	v_lshl_or_b32 v16, v12, 12, v7
	v_cndmask_b32_e64 v7, 0, 1, vcc
	v_lshlrev_b32_e32 v11, v11, v18
	v_cmp_ne_u32_e32 vcc, v5, v13
	v_cndmask_b32_e64 v5, 0, 1, vcc
	v_cmp_ne_u32_e32 vcc, v11, v15
	v_cndmask_b32_e64 v11, 0, 1, vcc
	v_or_b32_e32 v5, v17, v5
	v_cmp_gt_i32_e32 vcc, 1, v10
	v_cndmask_b32_e32 v5, v14, v5, vcc
	v_or_b32_e32 v11, v18, v11
	v_cmp_gt_i32_e32 vcc, 1, v12
	v_and_b32_e32 v13, 7, v5
	v_cndmask_b32_e32 v11, v16, v11, vcc
	v_cmp_lt_i32_e32 vcc, 5, v13
	v_cmp_eq_u32_e64 s[0:1], 3, v13
	v_lshrrev_b32_e32 v5, 2, v5
	v_and_b32_e32 v14, 7, v11
	s_or_b64 vcc, s[0:1], vcc
	v_cmp_lt_i32_e64 s[2:3], 5, v14
	v_cmp_eq_u32_e64 s[4:5], 3, v14
	v_addc_co_u32_e32 v5, vcc, 0, v5, vcc
	v_lshrrev_b32_e32 v11, 2, v11
	s_or_b64 vcc, s[4:5], s[2:3]
	v_addc_co_u32_e32 v11, vcc, 0, v11, vcc
	v_cmp_gt_i32_e32 vcc, 31, v10
	v_cndmask_b32_e32 v5, v0, v5, vcc
	v_cmp_gt_i32_e32 vcc, 31, v12
	v_lshl_or_b32 v1, v1, 9, v0
	v_cndmask_b32_e32 v11, v0, v11, vcc
	v_cmp_eq_u32_e32 vcc, s18, v10
	v_lshrrev_b32_e32 v6, 16, v6
	v_lshl_or_b32 v7, v7, 9, v0
	v_cndmask_b32_e32 v1, v5, v1, vcc
	v_cmp_eq_u32_e32 vcc, s18, v12
	v_lshrrev_b32_e32 v8, 16, v8
	v_cndmask_b32_e32 v5, v11, v7, vcc
	v_and_or_b32 v1, v6, s17, v1
	v_and_or_b32 v5, v8, s17, v5
	v_and_b32_e32 v1, 0xffff, v1
	v_lshl_or_b32 v1, v5, 16, v1
	global_store_dword v[3:4], v1, off
	global_load_dword v1, v51, s[6:7] offset:2400
	v_lshrrev_b32_e32 v5, 16, v2
	v_mov_b32_e32 v7, s9
	v_add_co_u32_e32 v3, vcc, s8, v3
	v_addc_co_u32_e32 v4, vcc, v4, v7, vcc
	s_waitcnt vmcnt(0)
	v_mul_f16_sdwa v6, v5, v1 dst_sel:DWORD dst_unused:UNUSED_PAD src0_sel:DWORD src1_sel:WORD_1
	v_fma_f16 v6, v2, v1, v6
	v_mul_f16_sdwa v2, v2, v1 dst_sel:DWORD dst_unused:UNUSED_PAD src0_sel:DWORD src1_sel:WORD_1
	v_cvt_f32_f16_e32 v6, v6
	v_fma_f16 v1, v1, v5, -v2
	v_cvt_f32_f16_e32 v5, v1
	v_cvt_f64_f32_e32 v[1:2], v6
	v_cvt_f64_f32_e32 v[5:6], v5
	v_mul_f64 v[1:2], v[1:2], s[14:15]
	v_mul_f64 v[5:6], v[5:6], s[14:15]
	v_and_or_b32 v1, v2, s16, v1
	v_cmp_ne_u32_e32 vcc, 0, v1
	v_and_or_b32 v5, v6, s16, v5
	v_lshrrev_b32_e32 v7, 8, v2
	v_bfe_u32 v8, v2, 20, 11
	v_cndmask_b32_e64 v1, 0, 1, vcc
	v_cmp_ne_u32_e32 vcc, 0, v5
	v_lshrrev_b32_e32 v10, 8, v6
	v_bfe_u32 v11, v6, 20, 11
	v_sub_u32_e32 v12, 0x3f1, v8
	v_cndmask_b32_e64 v5, 0, 1, vcc
	v_and_or_b32 v1, v7, s10, v1
	v_sub_u32_e32 v13, 0x3f1, v11
	v_med3_i32 v7, v12, 0, 13
	v_and_or_b32 v5, v10, s10, v5
	v_or_b32_e32 v12, 0x1000, v1
	v_add_u32_e32 v8, 0xfffffc10, v8
	v_med3_i32 v10, v13, 0, 13
	v_cmp_ne_u32_e32 vcc, 0, v1
	v_or_b32_e32 v14, 0x1000, v5
	v_lshrrev_b32_e32 v16, v7, v12
	v_add_u32_e32 v11, 0xfffffc10, v11
	v_lshl_or_b32 v13, v8, 12, v1
	v_cndmask_b32_e64 v1, 0, 1, vcc
	v_cmp_ne_u32_e32 vcc, 0, v5
	v_lshrrev_b32_e32 v17, v10, v14
	v_lshlrev_b32_e32 v7, v7, v16
	v_lshl_or_b32 v15, v11, 12, v5
	v_cndmask_b32_e64 v5, 0, 1, vcc
	v_lshlrev_b32_e32 v10, v10, v17
	v_cmp_ne_u32_e32 vcc, v7, v12
	v_cndmask_b32_e64 v7, 0, 1, vcc
	v_cmp_ne_u32_e32 vcc, v10, v14
	v_cndmask_b32_e64 v10, 0, 1, vcc
	v_or_b32_e32 v7, v16, v7
	v_cmp_gt_i32_e32 vcc, 1, v8
	v_cndmask_b32_e32 v7, v13, v7, vcc
	v_or_b32_e32 v10, v17, v10
	v_cmp_gt_i32_e32 vcc, 1, v11
	v_and_b32_e32 v12, 7, v7
	v_cndmask_b32_e32 v10, v15, v10, vcc
	v_cmp_lt_i32_e32 vcc, 5, v12
	v_cmp_eq_u32_e64 s[0:1], 3, v12
	v_lshrrev_b32_e32 v7, 2, v7
	v_and_b32_e32 v13, 7, v10
	s_or_b64 vcc, s[0:1], vcc
	v_cmp_lt_i32_e64 s[2:3], 5, v13
	v_cmp_eq_u32_e64 s[4:5], 3, v13
	v_addc_co_u32_e32 v7, vcc, 0, v7, vcc
	v_lshrrev_b32_e32 v10, 2, v10
	s_or_b64 vcc, s[4:5], s[2:3]
	v_addc_co_u32_e32 v10, vcc, 0, v10, vcc
	v_cmp_gt_i32_e32 vcc, 31, v8
	v_cndmask_b32_e32 v7, v0, v7, vcc
	v_cmp_gt_i32_e32 vcc, 31, v11
	v_lshl_or_b32 v1, v1, 9, v0
	v_cndmask_b32_e32 v10, v0, v10, vcc
	v_cmp_eq_u32_e32 vcc, s18, v8
	v_lshrrev_b32_e32 v2, 16, v2
	v_lshl_or_b32 v5, v5, 9, v0
	v_cndmask_b32_e32 v1, v7, v1, vcc
	v_cmp_eq_u32_e32 vcc, s18, v11
	v_lshrrev_b32_e32 v6, 16, v6
	v_cndmask_b32_e32 v5, v10, v5, vcc
	v_and_or_b32 v1, v2, s17, v1
	v_and_or_b32 v2, v6, s17, v5
	v_and_b32_e32 v1, 0xffff, v1
	v_lshl_or_b32 v1, v2, 16, v1
	global_store_dword v[3:4], v1, off
	global_load_dword v5, v51, s[6:7] offset:2700
	ds_read2_b32 v[1:2], v9 offset0:163 offset1:238
	v_add_co_u32_e32 v3, vcc, s8, v3
	s_waitcnt lgkmcnt(0)
	v_lshrrev_b32_e32 v6, 16, v1
	s_waitcnt vmcnt(0)
	v_mul_f16_sdwa v7, v6, v5 dst_sel:DWORD dst_unused:UNUSED_PAD src0_sel:DWORD src1_sel:WORD_1
	v_fma_f16 v7, v1, v5, v7
	v_mul_f16_sdwa v1, v1, v5 dst_sel:DWORD dst_unused:UNUSED_PAD src0_sel:DWORD src1_sel:WORD_1
	v_cvt_f32_f16_e32 v7, v7
	v_fma_f16 v1, v5, v6, -v1
	v_cvt_f32_f16_e32 v1, v1
	v_cvt_f64_f32_e32 v[5:6], v7
	v_cvt_f64_f32_e32 v[7:8], v1
	v_mov_b32_e32 v1, s9
	v_mul_f64 v[5:6], v[5:6], s[14:15]
	v_addc_co_u32_e32 v4, vcc, v4, v1, vcc
	v_mul_f64 v[7:8], v[7:8], s[14:15]
	v_and_or_b32 v1, v6, s16, v5
	v_cmp_ne_u32_e32 vcc, 0, v1
	v_lshrrev_b32_e32 v5, 8, v6
	v_and_or_b32 v7, v8, s16, v7
	v_bfe_u32 v9, v6, 20, 11
	v_cndmask_b32_e64 v1, 0, 1, vcc
	v_cmp_ne_u32_e32 vcc, 0, v7
	v_lshrrev_b32_e32 v10, 8, v8
	v_bfe_u32 v11, v8, 20, 11
	v_sub_u32_e32 v12, 0x3f1, v9
	v_cndmask_b32_e64 v7, 0, 1, vcc
	v_and_or_b32 v1, v5, s10, v1
	v_sub_u32_e32 v13, 0x3f1, v11
	v_med3_i32 v5, v12, 0, 13
	v_and_or_b32 v7, v10, s10, v7
	v_or_b32_e32 v12, 0x1000, v1
	v_add_u32_e32 v9, 0xfffffc10, v9
	v_med3_i32 v10, v13, 0, 13
	v_cmp_ne_u32_e32 vcc, 0, v1
	v_or_b32_e32 v14, 0x1000, v7
	v_lshrrev_b32_e32 v16, v5, v12
	v_add_u32_e32 v11, 0xfffffc10, v11
	v_lshl_or_b32 v13, v9, 12, v1
	v_cndmask_b32_e64 v1, 0, 1, vcc
	v_cmp_ne_u32_e32 vcc, 0, v7
	v_lshrrev_b32_e32 v17, v10, v14
	v_lshlrev_b32_e32 v5, v5, v16
	v_lshl_or_b32 v15, v11, 12, v7
	v_cndmask_b32_e64 v7, 0, 1, vcc
	v_lshlrev_b32_e32 v10, v10, v17
	v_cmp_ne_u32_e32 vcc, v5, v12
	v_cndmask_b32_e64 v5, 0, 1, vcc
	v_cmp_ne_u32_e32 vcc, v10, v14
	v_cndmask_b32_e64 v10, 0, 1, vcc
	v_or_b32_e32 v5, v16, v5
	v_cmp_gt_i32_e32 vcc, 1, v9
	v_cndmask_b32_e32 v5, v13, v5, vcc
	v_or_b32_e32 v10, v17, v10
	v_cmp_gt_i32_e32 vcc, 1, v11
	v_and_b32_e32 v12, 7, v5
	v_cndmask_b32_e32 v10, v15, v10, vcc
	v_cmp_lt_i32_e32 vcc, 5, v12
	v_cmp_eq_u32_e64 s[0:1], 3, v12
	v_lshrrev_b32_e32 v5, 2, v5
	v_and_b32_e32 v13, 7, v10
	s_or_b64 vcc, s[0:1], vcc
	v_cmp_lt_i32_e64 s[2:3], 5, v13
	v_cmp_eq_u32_e64 s[4:5], 3, v13
	v_addc_co_u32_e32 v5, vcc, 0, v5, vcc
	v_lshrrev_b32_e32 v10, 2, v10
	s_or_b64 vcc, s[4:5], s[2:3]
	v_addc_co_u32_e32 v10, vcc, 0, v10, vcc
	v_cmp_gt_i32_e32 vcc, 31, v9
	v_cndmask_b32_e32 v5, v0, v5, vcc
	v_cmp_gt_i32_e32 vcc, 31, v11
	v_lshl_or_b32 v1, v1, 9, v0
	v_cndmask_b32_e32 v10, v0, v10, vcc
	v_cmp_eq_u32_e32 vcc, s18, v9
	v_lshrrev_b32_e32 v6, 16, v6
	v_lshl_or_b32 v7, v7, 9, v0
	v_cndmask_b32_e32 v1, v5, v1, vcc
	v_cmp_eq_u32_e32 vcc, s18, v11
	v_lshrrev_b32_e32 v8, 16, v8
	v_cndmask_b32_e32 v5, v10, v7, vcc
	v_and_or_b32 v1, v6, s17, v1
	v_and_or_b32 v5, v8, s17, v5
	v_and_b32_e32 v1, 0xffff, v1
	v_lshl_or_b32 v1, v5, 16, v1
	global_store_dword v[3:4], v1, off
	global_load_dword v1, v51, s[6:7] offset:3000
	v_lshrrev_b32_e32 v5, 16, v2
	v_mov_b32_e32 v7, s9
	v_add_co_u32_e32 v3, vcc, s8, v3
	v_addc_co_u32_e32 v4, vcc, v4, v7, vcc
	s_waitcnt vmcnt(0)
	v_mul_f16_sdwa v6, v5, v1 dst_sel:DWORD dst_unused:UNUSED_PAD src0_sel:DWORD src1_sel:WORD_1
	v_fma_f16 v6, v2, v1, v6
	v_mul_f16_sdwa v2, v2, v1 dst_sel:DWORD dst_unused:UNUSED_PAD src0_sel:DWORD src1_sel:WORD_1
	v_cvt_f32_f16_e32 v6, v6
	v_fma_f16 v1, v1, v5, -v2
	v_cvt_f32_f16_e32 v5, v1
	v_cvt_f64_f32_e32 v[1:2], v6
	v_cvt_f64_f32_e32 v[5:6], v5
	v_mul_f64 v[1:2], v[1:2], s[14:15]
	v_mul_f64 v[5:6], v[5:6], s[14:15]
	v_and_or_b32 v1, v2, s16, v1
	v_cmp_ne_u32_e32 vcc, 0, v1
	v_and_or_b32 v5, v6, s16, v5
	v_lshrrev_b32_e32 v7, 8, v2
	v_bfe_u32 v8, v2, 20, 11
	v_cndmask_b32_e64 v1, 0, 1, vcc
	v_cmp_ne_u32_e32 vcc, 0, v5
	v_lshrrev_b32_e32 v9, 8, v6
	v_bfe_u32 v10, v6, 20, 11
	v_sub_u32_e32 v11, 0x3f1, v8
	v_cndmask_b32_e64 v5, 0, 1, vcc
	v_and_or_b32 v1, v7, s10, v1
	v_sub_u32_e32 v12, 0x3f1, v10
	v_med3_i32 v7, v11, 0, 13
	v_and_or_b32 v5, v9, s10, v5
	v_or_b32_e32 v11, 0x1000, v1
	v_add_u32_e32 v8, 0xfffffc10, v8
	v_med3_i32 v9, v12, 0, 13
	v_cmp_ne_u32_e32 vcc, 0, v1
	v_or_b32_e32 v13, 0x1000, v5
	v_lshrrev_b32_e32 v15, v7, v11
	v_add_u32_e32 v10, 0xfffffc10, v10
	v_lshl_or_b32 v12, v8, 12, v1
	v_cndmask_b32_e64 v1, 0, 1, vcc
	v_cmp_ne_u32_e32 vcc, 0, v5
	v_lshrrev_b32_e32 v16, v9, v13
	v_lshlrev_b32_e32 v7, v7, v15
	v_lshl_or_b32 v14, v10, 12, v5
	v_cndmask_b32_e64 v5, 0, 1, vcc
	v_lshlrev_b32_e32 v9, v9, v16
	v_cmp_ne_u32_e32 vcc, v7, v11
	v_cndmask_b32_e64 v7, 0, 1, vcc
	v_cmp_ne_u32_e32 vcc, v9, v13
	v_cndmask_b32_e64 v9, 0, 1, vcc
	v_or_b32_e32 v7, v15, v7
	v_cmp_gt_i32_e32 vcc, 1, v8
	v_cndmask_b32_e32 v7, v12, v7, vcc
	v_or_b32_e32 v9, v16, v9
	v_cmp_gt_i32_e32 vcc, 1, v10
	v_and_b32_e32 v11, 7, v7
	v_cndmask_b32_e32 v9, v14, v9, vcc
	v_cmp_lt_i32_e32 vcc, 5, v11
	v_cmp_eq_u32_e64 s[0:1], 3, v11
	v_lshrrev_b32_e32 v7, 2, v7
	v_and_b32_e32 v12, 7, v9
	s_or_b64 vcc, s[0:1], vcc
	v_cmp_lt_i32_e64 s[2:3], 5, v12
	v_cmp_eq_u32_e64 s[4:5], 3, v12
	v_addc_co_u32_e32 v7, vcc, 0, v7, vcc
	v_lshrrev_b32_e32 v9, 2, v9
	s_or_b64 vcc, s[4:5], s[2:3]
	v_addc_co_u32_e32 v9, vcc, 0, v9, vcc
	v_cmp_gt_i32_e32 vcc, 31, v8
	v_cndmask_b32_e32 v7, v0, v7, vcc
	v_cmp_gt_i32_e32 vcc, 31, v10
	v_lshl_or_b32 v1, v1, 9, v0
	v_cndmask_b32_e32 v9, v0, v9, vcc
	v_cmp_eq_u32_e32 vcc, s18, v8
	v_lshrrev_b32_e32 v2, 16, v2
	v_lshl_or_b32 v5, v5, 9, v0
	v_cndmask_b32_e32 v1, v7, v1, vcc
	v_cmp_eq_u32_e32 vcc, s18, v10
	v_lshrrev_b32_e32 v6, 16, v6
	v_cndmask_b32_e32 v5, v9, v5, vcc
	v_and_or_b32 v1, v2, s17, v1
	v_and_or_b32 v2, v6, s17, v5
	v_and_b32_e32 v1, 0xffff, v1
	v_lshl_or_b32 v1, v2, 16, v1
	global_store_dword v[3:4], v1, off
	global_load_dword v5, v51, s[6:7] offset:3300
	v_add_u32_e32 v1, 0xc00, v53
	ds_read2_b32 v[1:2], v1 offset0:57 offset1:132
	v_add_co_u32_e32 v3, vcc, s8, v3
	s_waitcnt lgkmcnt(0)
	v_lshrrev_b32_e32 v6, 16, v1
	s_waitcnt vmcnt(0)
	v_mul_f16_sdwa v7, v6, v5 dst_sel:DWORD dst_unused:UNUSED_PAD src0_sel:DWORD src1_sel:WORD_1
	v_fma_f16 v7, v1, v5, v7
	v_mul_f16_sdwa v1, v1, v5 dst_sel:DWORD dst_unused:UNUSED_PAD src0_sel:DWORD src1_sel:WORD_1
	v_cvt_f32_f16_e32 v7, v7
	v_fma_f16 v1, v5, v6, -v1
	v_cvt_f32_f16_e32 v1, v1
	v_cvt_f64_f32_e32 v[5:6], v7
	v_cvt_f64_f32_e32 v[7:8], v1
	v_mov_b32_e32 v1, s9
	v_mul_f64 v[5:6], v[5:6], s[14:15]
	v_addc_co_u32_e32 v4, vcc, v4, v1, vcc
	v_mul_f64 v[7:8], v[7:8], s[14:15]
	v_and_or_b32 v1, v6, s16, v5
	v_cmp_ne_u32_e32 vcc, 0, v1
	v_lshrrev_b32_e32 v5, 8, v6
	v_and_or_b32 v7, v8, s16, v7
	v_bfe_u32 v9, v6, 20, 11
	v_cndmask_b32_e64 v1, 0, 1, vcc
	v_cmp_ne_u32_e32 vcc, 0, v7
	v_lshrrev_b32_e32 v10, 8, v8
	v_bfe_u32 v11, v8, 20, 11
	v_sub_u32_e32 v12, 0x3f1, v9
	v_cndmask_b32_e64 v7, 0, 1, vcc
	v_and_or_b32 v1, v5, s10, v1
	v_sub_u32_e32 v13, 0x3f1, v11
	v_med3_i32 v5, v12, 0, 13
	v_and_or_b32 v7, v10, s10, v7
	v_or_b32_e32 v12, 0x1000, v1
	v_add_u32_e32 v9, 0xfffffc10, v9
	v_med3_i32 v10, v13, 0, 13
	v_cmp_ne_u32_e32 vcc, 0, v1
	v_or_b32_e32 v14, 0x1000, v7
	v_lshrrev_b32_e32 v16, v5, v12
	v_add_u32_e32 v11, 0xfffffc10, v11
	v_lshl_or_b32 v13, v9, 12, v1
	v_cndmask_b32_e64 v1, 0, 1, vcc
	v_cmp_ne_u32_e32 vcc, 0, v7
	v_lshrrev_b32_e32 v17, v10, v14
	v_lshlrev_b32_e32 v5, v5, v16
	v_lshl_or_b32 v15, v11, 12, v7
	v_cndmask_b32_e64 v7, 0, 1, vcc
	v_lshlrev_b32_e32 v10, v10, v17
	v_cmp_ne_u32_e32 vcc, v5, v12
	v_cndmask_b32_e64 v5, 0, 1, vcc
	v_cmp_ne_u32_e32 vcc, v10, v14
	v_cndmask_b32_e64 v10, 0, 1, vcc
	v_or_b32_e32 v5, v16, v5
	v_cmp_gt_i32_e32 vcc, 1, v9
	v_cndmask_b32_e32 v5, v13, v5, vcc
	v_or_b32_e32 v10, v17, v10
	v_cmp_gt_i32_e32 vcc, 1, v11
	v_and_b32_e32 v12, 7, v5
	v_cndmask_b32_e32 v10, v15, v10, vcc
	v_cmp_lt_i32_e32 vcc, 5, v12
	v_cmp_eq_u32_e64 s[0:1], 3, v12
	v_lshrrev_b32_e32 v5, 2, v5
	v_and_b32_e32 v13, 7, v10
	s_or_b64 vcc, s[0:1], vcc
	v_cmp_lt_i32_e64 s[2:3], 5, v13
	v_cmp_eq_u32_e64 s[4:5], 3, v13
	v_addc_co_u32_e32 v5, vcc, 0, v5, vcc
	v_lshrrev_b32_e32 v10, 2, v10
	s_or_b64 vcc, s[4:5], s[2:3]
	v_addc_co_u32_e32 v10, vcc, 0, v10, vcc
	v_cmp_gt_i32_e32 vcc, 31, v9
	v_cndmask_b32_e32 v5, v0, v5, vcc
	v_cmp_gt_i32_e32 vcc, 31, v11
	v_lshl_or_b32 v1, v1, 9, v0
	v_cndmask_b32_e32 v10, v0, v10, vcc
	v_cmp_eq_u32_e32 vcc, s18, v9
	v_lshrrev_b32_e32 v6, 16, v6
	v_lshl_or_b32 v7, v7, 9, v0
	v_cndmask_b32_e32 v1, v5, v1, vcc
	v_cmp_eq_u32_e32 vcc, s18, v11
	v_lshrrev_b32_e32 v8, 16, v8
	v_cndmask_b32_e32 v5, v10, v7, vcc
	v_and_or_b32 v1, v6, s17, v1
	v_and_or_b32 v5, v8, s17, v5
	v_and_b32_e32 v1, 0xffff, v1
	v_lshl_or_b32 v1, v5, 16, v1
	global_store_dword v[3:4], v1, off
	global_load_dword v1, v51, s[6:7] offset:3600
	v_lshrrev_b32_e32 v5, 16, v2
	v_mov_b32_e32 v7, s9
	v_add_co_u32_e32 v3, vcc, s8, v3
	v_addc_co_u32_e32 v4, vcc, v4, v7, vcc
	s_waitcnt vmcnt(0)
	v_mul_f16_sdwa v6, v5, v1 dst_sel:DWORD dst_unused:UNUSED_PAD src0_sel:DWORD src1_sel:WORD_1
	v_fma_f16 v6, v2, v1, v6
	v_mul_f16_sdwa v2, v2, v1 dst_sel:DWORD dst_unused:UNUSED_PAD src0_sel:DWORD src1_sel:WORD_1
	v_cvt_f32_f16_e32 v6, v6
	v_fma_f16 v1, v1, v5, -v2
	v_cvt_f32_f16_e32 v5, v1
	v_cvt_f64_f32_e32 v[1:2], v6
	v_cvt_f64_f32_e32 v[5:6], v5
	v_mul_f64 v[1:2], v[1:2], s[14:15]
	v_mul_f64 v[5:6], v[5:6], s[14:15]
	v_and_or_b32 v1, v2, s16, v1
	v_cmp_ne_u32_e32 vcc, 0, v1
	v_and_or_b32 v5, v6, s16, v5
	v_lshrrev_b32_e32 v7, 8, v2
	v_bfe_u32 v8, v2, 20, 11
	v_cndmask_b32_e64 v1, 0, 1, vcc
	v_cmp_ne_u32_e32 vcc, 0, v5
	v_lshrrev_b32_e32 v9, 8, v6
	v_bfe_u32 v10, v6, 20, 11
	v_sub_u32_e32 v11, 0x3f1, v8
	v_cndmask_b32_e64 v5, 0, 1, vcc
	v_and_or_b32 v1, v7, s10, v1
	v_sub_u32_e32 v12, 0x3f1, v10
	v_med3_i32 v7, v11, 0, 13
	v_and_or_b32 v5, v9, s10, v5
	v_or_b32_e32 v11, 0x1000, v1
	v_add_u32_e32 v8, 0xfffffc10, v8
	v_med3_i32 v9, v12, 0, 13
	v_cmp_ne_u32_e32 vcc, 0, v1
	v_or_b32_e32 v13, 0x1000, v5
	v_lshrrev_b32_e32 v15, v7, v11
	v_add_u32_e32 v10, 0xfffffc10, v10
	v_lshl_or_b32 v12, v8, 12, v1
	v_cndmask_b32_e64 v1, 0, 1, vcc
	v_cmp_ne_u32_e32 vcc, 0, v5
	v_lshrrev_b32_e32 v16, v9, v13
	v_lshlrev_b32_e32 v7, v7, v15
	v_lshl_or_b32 v14, v10, 12, v5
	v_cndmask_b32_e64 v5, 0, 1, vcc
	v_lshlrev_b32_e32 v9, v9, v16
	v_cmp_ne_u32_e32 vcc, v7, v11
	v_cndmask_b32_e64 v7, 0, 1, vcc
	v_cmp_ne_u32_e32 vcc, v9, v13
	v_cndmask_b32_e64 v9, 0, 1, vcc
	v_or_b32_e32 v7, v15, v7
	v_cmp_gt_i32_e32 vcc, 1, v8
	v_cndmask_b32_e32 v7, v12, v7, vcc
	v_or_b32_e32 v9, v16, v9
	v_cmp_gt_i32_e32 vcc, 1, v10
	v_and_b32_e32 v11, 7, v7
	v_cndmask_b32_e32 v9, v14, v9, vcc
	v_cmp_lt_i32_e32 vcc, 5, v11
	v_cmp_eq_u32_e64 s[0:1], 3, v11
	v_lshrrev_b32_e32 v7, 2, v7
	v_and_b32_e32 v12, 7, v9
	s_or_b64 vcc, s[0:1], vcc
	v_cmp_lt_i32_e64 s[2:3], 5, v12
	v_cmp_eq_u32_e64 s[4:5], 3, v12
	v_addc_co_u32_e32 v7, vcc, 0, v7, vcc
	v_lshrrev_b32_e32 v9, 2, v9
	s_or_b64 vcc, s[4:5], s[2:3]
	v_addc_co_u32_e32 v9, vcc, 0, v9, vcc
	v_cmp_gt_i32_e32 vcc, 31, v8
	v_cndmask_b32_e32 v7, v0, v7, vcc
	v_cmp_gt_i32_e32 vcc, 31, v10
	v_lshl_or_b32 v1, v1, 9, v0
	v_cndmask_b32_e32 v9, v0, v9, vcc
	v_cmp_eq_u32_e32 vcc, s18, v8
	v_lshrrev_b32_e32 v2, 16, v2
	v_lshl_or_b32 v5, v5, 9, v0
	v_cndmask_b32_e32 v1, v7, v1, vcc
	v_cmp_eq_u32_e32 vcc, s18, v10
	v_lshrrev_b32_e32 v6, 16, v6
	v_cndmask_b32_e32 v5, v9, v5, vcc
	v_and_or_b32 v1, v2, s17, v1
	v_and_or_b32 v2, v6, s17, v5
	v_and_b32_e32 v1, 0xffff, v1
	v_lshl_or_b32 v1, v2, 16, v1
	global_store_dword v[3:4], v1, off
	global_load_dword v5, v51, s[6:7] offset:3900
	v_add_u32_e32 v1, 0xe00, v53
	ds_read2_b32 v[1:2], v1 offset0:79 offset1:154
	v_mov_b32_e32 v7, s7
	v_add_co_u32_e32 v9, vcc, s6, v51
	v_addc_co_u32_e32 v10, vcc, 0, v7, vcc
	s_waitcnt lgkmcnt(0)
	v_lshrrev_b32_e32 v6, 16, v1
	s_movk_i32 s0, 0x1000
	v_add_co_u32_e32 v9, vcc, s0, v9
	v_addc_co_u32_e32 v10, vcc, 0, v10, vcc
	v_mov_b32_e32 v11, s9
	v_add_co_u32_e32 v3, vcc, s8, v3
	v_addc_co_u32_e32 v4, vcc, v4, v11, vcc
	s_waitcnt vmcnt(0)
	v_mul_f16_sdwa v8, v6, v5 dst_sel:DWORD dst_unused:UNUSED_PAD src0_sel:DWORD src1_sel:WORD_1
	v_fma_f16 v8, v1, v5, v8
	v_mul_f16_sdwa v1, v1, v5 dst_sel:DWORD dst_unused:UNUSED_PAD src0_sel:DWORD src1_sel:WORD_1
	v_cvt_f32_f16_e32 v8, v8
	v_fma_f16 v1, v5, v6, -v1
	v_cvt_f32_f16_e32 v1, v1
	v_cvt_f64_f32_e32 v[5:6], v8
	v_cvt_f64_f32_e32 v[7:8], v1
	v_mul_f64 v[5:6], v[5:6], s[14:15]
	v_mul_f64 v[7:8], v[7:8], s[14:15]
	v_and_or_b32 v1, v6, s16, v5
	v_cmp_ne_u32_e32 vcc, 0, v1
	v_and_or_b32 v7, v8, s16, v7
	v_lshrrev_b32_e32 v5, 8, v6
	v_bfe_u32 v11, v6, 20, 11
	v_cndmask_b32_e64 v1, 0, 1, vcc
	v_cmp_ne_u32_e32 vcc, 0, v7
	v_lshrrev_b32_e32 v12, 8, v8
	v_bfe_u32 v13, v8, 20, 11
	v_sub_u32_e32 v14, 0x3f1, v11
	v_cndmask_b32_e64 v7, 0, 1, vcc
	v_and_or_b32 v1, v5, s10, v1
	v_sub_u32_e32 v15, 0x3f1, v13
	v_med3_i32 v5, v14, 0, 13
	v_and_or_b32 v7, v12, s10, v7
	v_or_b32_e32 v14, 0x1000, v1
	v_add_u32_e32 v11, 0xfffffc10, v11
	v_med3_i32 v12, v15, 0, 13
	v_cmp_ne_u32_e32 vcc, 0, v1
	v_or_b32_e32 v16, 0x1000, v7
	v_lshrrev_b32_e32 v18, v5, v14
	v_add_u32_e32 v13, 0xfffffc10, v13
	v_lshl_or_b32 v15, v11, 12, v1
	v_cndmask_b32_e64 v1, 0, 1, vcc
	v_cmp_ne_u32_e32 vcc, 0, v7
	v_lshrrev_b32_e32 v19, v12, v16
	v_lshlrev_b32_e32 v5, v5, v18
	v_lshl_or_b32 v17, v13, 12, v7
	v_cndmask_b32_e64 v7, 0, 1, vcc
	v_lshlrev_b32_e32 v12, v12, v19
	v_cmp_ne_u32_e32 vcc, v5, v14
	v_cndmask_b32_e64 v5, 0, 1, vcc
	v_cmp_ne_u32_e32 vcc, v12, v16
	v_cndmask_b32_e64 v12, 0, 1, vcc
	v_or_b32_e32 v5, v18, v5
	v_cmp_gt_i32_e32 vcc, 1, v11
	v_cndmask_b32_e32 v5, v15, v5, vcc
	v_or_b32_e32 v12, v19, v12
	v_cmp_gt_i32_e32 vcc, 1, v13
	v_and_b32_e32 v14, 7, v5
	v_cndmask_b32_e32 v12, v17, v12, vcc
	v_cmp_lt_i32_e32 vcc, 5, v14
	v_cmp_eq_u32_e64 s[0:1], 3, v14
	v_lshrrev_b32_e32 v5, 2, v5
	v_and_b32_e32 v15, 7, v12
	s_or_b64 vcc, s[0:1], vcc
	v_cmp_lt_i32_e64 s[2:3], 5, v15
	v_cmp_eq_u32_e64 s[4:5], 3, v15
	v_addc_co_u32_e32 v5, vcc, 0, v5, vcc
	v_lshrrev_b32_e32 v12, 2, v12
	s_or_b64 vcc, s[4:5], s[2:3]
	v_addc_co_u32_e32 v12, vcc, 0, v12, vcc
	v_cmp_gt_i32_e32 vcc, 31, v11
	v_cndmask_b32_e32 v5, v0, v5, vcc
	v_cmp_gt_i32_e32 vcc, 31, v13
	v_lshl_or_b32 v1, v1, 9, v0
	v_cndmask_b32_e32 v12, v0, v12, vcc
	v_cmp_eq_u32_e32 vcc, s18, v11
	v_lshrrev_b32_e32 v6, 16, v6
	v_lshl_or_b32 v7, v7, 9, v0
	v_cndmask_b32_e32 v1, v5, v1, vcc
	v_cmp_eq_u32_e32 vcc, s18, v13
	v_lshrrev_b32_e32 v8, 16, v8
	v_cndmask_b32_e32 v5, v12, v7, vcc
	v_and_or_b32 v1, v6, s17, v1
	v_and_or_b32 v5, v8, s17, v5
	v_and_b32_e32 v1, 0xffff, v1
	v_lshl_or_b32 v1, v5, 16, v1
	global_store_dword v[3:4], v1, off
	global_load_dword v1, v[9:10], off offset:104
	v_lshrrev_b32_e32 v5, 16, v2
	v_mov_b32_e32 v7, s9
	v_add_co_u32_e32 v3, vcc, s8, v3
	v_addc_co_u32_e32 v4, vcc, v4, v7, vcc
	s_waitcnt vmcnt(0)
	v_mul_f16_sdwa v6, v5, v1 dst_sel:DWORD dst_unused:UNUSED_PAD src0_sel:DWORD src1_sel:WORD_1
	v_fma_f16 v6, v2, v1, v6
	v_mul_f16_sdwa v2, v2, v1 dst_sel:DWORD dst_unused:UNUSED_PAD src0_sel:DWORD src1_sel:WORD_1
	v_cvt_f32_f16_e32 v6, v6
	v_fma_f16 v1, v1, v5, -v2
	v_cvt_f32_f16_e32 v5, v1
	v_cvt_f64_f32_e32 v[1:2], v6
	v_cvt_f64_f32_e32 v[5:6], v5
	v_mul_f64 v[1:2], v[1:2], s[14:15]
	v_mul_f64 v[5:6], v[5:6], s[14:15]
	v_and_or_b32 v1, v2, s16, v1
	v_cmp_ne_u32_e32 vcc, 0, v1
	v_and_or_b32 v5, v6, s16, v5
	v_lshrrev_b32_e32 v7, 8, v2
	v_bfe_u32 v8, v2, 20, 11
	v_cndmask_b32_e64 v1, 0, 1, vcc
	v_cmp_ne_u32_e32 vcc, 0, v5
	v_lshrrev_b32_e32 v11, 8, v6
	v_bfe_u32 v12, v6, 20, 11
	v_sub_u32_e32 v13, 0x3f1, v8
	v_cndmask_b32_e64 v5, 0, 1, vcc
	v_and_or_b32 v1, v7, s10, v1
	v_sub_u32_e32 v14, 0x3f1, v12
	v_med3_i32 v7, v13, 0, 13
	v_and_or_b32 v5, v11, s10, v5
	v_or_b32_e32 v13, 0x1000, v1
	v_add_u32_e32 v8, 0xfffffc10, v8
	v_med3_i32 v11, v14, 0, 13
	v_cmp_ne_u32_e32 vcc, 0, v1
	v_or_b32_e32 v15, 0x1000, v5
	v_lshrrev_b32_e32 v17, v7, v13
	v_add_u32_e32 v12, 0xfffffc10, v12
	v_lshl_or_b32 v14, v8, 12, v1
	v_cndmask_b32_e64 v1, 0, 1, vcc
	v_cmp_ne_u32_e32 vcc, 0, v5
	v_lshrrev_b32_e32 v18, v11, v15
	v_lshlrev_b32_e32 v7, v7, v17
	v_lshl_or_b32 v16, v12, 12, v5
	v_cndmask_b32_e64 v5, 0, 1, vcc
	v_lshlrev_b32_e32 v11, v11, v18
	v_cmp_ne_u32_e32 vcc, v7, v13
	v_cndmask_b32_e64 v7, 0, 1, vcc
	v_cmp_ne_u32_e32 vcc, v11, v15
	v_cndmask_b32_e64 v11, 0, 1, vcc
	v_or_b32_e32 v7, v17, v7
	v_cmp_gt_i32_e32 vcc, 1, v8
	v_cndmask_b32_e32 v7, v14, v7, vcc
	v_or_b32_e32 v11, v18, v11
	v_cmp_gt_i32_e32 vcc, 1, v12
	v_and_b32_e32 v13, 7, v7
	v_cndmask_b32_e32 v11, v16, v11, vcc
	v_cmp_lt_i32_e32 vcc, 5, v13
	v_cmp_eq_u32_e64 s[0:1], 3, v13
	v_lshrrev_b32_e32 v7, 2, v7
	v_and_b32_e32 v14, 7, v11
	s_or_b64 vcc, s[0:1], vcc
	v_cmp_lt_i32_e64 s[2:3], 5, v14
	v_cmp_eq_u32_e64 s[4:5], 3, v14
	v_addc_co_u32_e32 v7, vcc, 0, v7, vcc
	v_lshrrev_b32_e32 v11, 2, v11
	s_or_b64 vcc, s[4:5], s[2:3]
	v_addc_co_u32_e32 v11, vcc, 0, v11, vcc
	v_cmp_gt_i32_e32 vcc, 31, v8
	v_cndmask_b32_e32 v7, v0, v7, vcc
	v_cmp_gt_i32_e32 vcc, 31, v12
	v_lshl_or_b32 v1, v1, 9, v0
	v_cndmask_b32_e32 v11, v0, v11, vcc
	v_cmp_eq_u32_e32 vcc, s18, v8
	v_lshrrev_b32_e32 v2, 16, v2
	v_lshl_or_b32 v5, v5, 9, v0
	v_cndmask_b32_e32 v1, v7, v1, vcc
	v_cmp_eq_u32_e32 vcc, s18, v12
	v_lshrrev_b32_e32 v6, 16, v6
	v_cndmask_b32_e32 v5, v11, v5, vcc
	v_and_or_b32 v1, v2, s17, v1
	v_and_or_b32 v2, v6, s17, v5
	v_and_b32_e32 v1, 0xffff, v1
	v_lshl_or_b32 v1, v2, 16, v1
	global_store_dword v[3:4], v1, off
	global_load_dword v5, v[9:10], off offset:404
	v_add_u32_e32 v1, 0x1000, v53
	ds_read2_b32 v[1:2], v1 offset0:101 offset1:176
	v_add_co_u32_e32 v3, vcc, s8, v3
	s_waitcnt lgkmcnt(0)
	v_lshrrev_b32_e32 v6, 16, v1
	s_waitcnt vmcnt(0)
	v_mul_f16_sdwa v7, v6, v5 dst_sel:DWORD dst_unused:UNUSED_PAD src0_sel:DWORD src1_sel:WORD_1
	v_fma_f16 v7, v1, v5, v7
	v_mul_f16_sdwa v1, v1, v5 dst_sel:DWORD dst_unused:UNUSED_PAD src0_sel:DWORD src1_sel:WORD_1
	v_cvt_f32_f16_e32 v7, v7
	v_fma_f16 v1, v5, v6, -v1
	v_cvt_f32_f16_e32 v1, v1
	v_cvt_f64_f32_e32 v[5:6], v7
	v_cvt_f64_f32_e32 v[7:8], v1
	v_mov_b32_e32 v1, s9
	v_mul_f64 v[5:6], v[5:6], s[14:15]
	v_addc_co_u32_e32 v4, vcc, v4, v1, vcc
	v_mul_f64 v[7:8], v[7:8], s[14:15]
	v_and_or_b32 v1, v6, s16, v5
	v_cmp_ne_u32_e32 vcc, 0, v1
	v_lshrrev_b32_e32 v5, 8, v6
	v_and_or_b32 v7, v8, s16, v7
	v_bfe_u32 v11, v6, 20, 11
	v_cndmask_b32_e64 v1, 0, 1, vcc
	v_cmp_ne_u32_e32 vcc, 0, v7
	v_lshrrev_b32_e32 v12, 8, v8
	v_bfe_u32 v13, v8, 20, 11
	v_sub_u32_e32 v14, 0x3f1, v11
	v_cndmask_b32_e64 v7, 0, 1, vcc
	v_and_or_b32 v1, v5, s10, v1
	v_sub_u32_e32 v15, 0x3f1, v13
	v_med3_i32 v5, v14, 0, 13
	v_and_or_b32 v7, v12, s10, v7
	v_or_b32_e32 v14, 0x1000, v1
	v_add_u32_e32 v11, 0xfffffc10, v11
	v_med3_i32 v12, v15, 0, 13
	v_cmp_ne_u32_e32 vcc, 0, v1
	v_or_b32_e32 v16, 0x1000, v7
	v_lshrrev_b32_e32 v18, v5, v14
	v_add_u32_e32 v13, 0xfffffc10, v13
	v_lshl_or_b32 v15, v11, 12, v1
	v_cndmask_b32_e64 v1, 0, 1, vcc
	v_cmp_ne_u32_e32 vcc, 0, v7
	v_lshrrev_b32_e32 v19, v12, v16
	v_lshlrev_b32_e32 v5, v5, v18
	v_lshl_or_b32 v17, v13, 12, v7
	v_cndmask_b32_e64 v7, 0, 1, vcc
	v_lshlrev_b32_e32 v12, v12, v19
	v_cmp_ne_u32_e32 vcc, v5, v14
	v_cndmask_b32_e64 v5, 0, 1, vcc
	v_cmp_ne_u32_e32 vcc, v12, v16
	v_cndmask_b32_e64 v12, 0, 1, vcc
	v_or_b32_e32 v5, v18, v5
	v_cmp_gt_i32_e32 vcc, 1, v11
	v_cndmask_b32_e32 v5, v15, v5, vcc
	v_or_b32_e32 v12, v19, v12
	v_cmp_gt_i32_e32 vcc, 1, v13
	v_and_b32_e32 v14, 7, v5
	v_cndmask_b32_e32 v12, v17, v12, vcc
	v_cmp_lt_i32_e32 vcc, 5, v14
	v_cmp_eq_u32_e64 s[0:1], 3, v14
	v_lshrrev_b32_e32 v5, 2, v5
	v_and_b32_e32 v15, 7, v12
	s_or_b64 vcc, s[0:1], vcc
	v_cmp_lt_i32_e64 s[2:3], 5, v15
	v_cmp_eq_u32_e64 s[4:5], 3, v15
	v_addc_co_u32_e32 v5, vcc, 0, v5, vcc
	v_lshrrev_b32_e32 v12, 2, v12
	s_or_b64 vcc, s[4:5], s[2:3]
	v_addc_co_u32_e32 v12, vcc, 0, v12, vcc
	v_cmp_gt_i32_e32 vcc, 31, v11
	v_cndmask_b32_e32 v5, v0, v5, vcc
	v_cmp_gt_i32_e32 vcc, 31, v13
	v_lshl_or_b32 v1, v1, 9, v0
	v_cndmask_b32_e32 v12, v0, v12, vcc
	v_cmp_eq_u32_e32 vcc, s18, v11
	v_lshrrev_b32_e32 v6, 16, v6
	v_lshl_or_b32 v7, v7, 9, v0
	v_cndmask_b32_e32 v1, v5, v1, vcc
	v_cmp_eq_u32_e32 vcc, s18, v13
	v_lshrrev_b32_e32 v8, 16, v8
	v_cndmask_b32_e32 v5, v12, v7, vcc
	v_and_or_b32 v1, v6, s17, v1
	v_and_or_b32 v5, v8, s17, v5
	v_and_b32_e32 v1, 0xffff, v1
	v_lshl_or_b32 v1, v5, 16, v1
	global_store_dword v[3:4], v1, off
	global_load_dword v1, v[9:10], off offset:704
	v_lshrrev_b32_e32 v5, 16, v2
	v_mov_b32_e32 v7, s9
	s_waitcnt vmcnt(0)
	v_mul_f16_sdwa v6, v5, v1 dst_sel:DWORD dst_unused:UNUSED_PAD src0_sel:DWORD src1_sel:WORD_1
	v_fma_f16 v6, v2, v1, v6
	v_mul_f16_sdwa v2, v2, v1 dst_sel:DWORD dst_unused:UNUSED_PAD src0_sel:DWORD src1_sel:WORD_1
	v_cvt_f32_f16_e32 v6, v6
	v_fma_f16 v1, v1, v5, -v2
	v_cvt_f32_f16_e32 v5, v1
	v_cvt_f64_f32_e32 v[1:2], v6
	v_cvt_f64_f32_e32 v[5:6], v5
	v_mul_f64 v[1:2], v[1:2], s[14:15]
	v_mul_f64 v[5:6], v[5:6], s[14:15]
	v_and_or_b32 v1, v2, s16, v1
	v_cmp_ne_u32_e32 vcc, 0, v1
	v_and_or_b32 v5, v6, s16, v5
	v_lshrrev_b32_e32 v8, 8, v2
	v_bfe_u32 v9, v2, 20, 11
	v_cndmask_b32_e64 v1, 0, 1, vcc
	v_cmp_ne_u32_e32 vcc, 0, v5
	v_lshrrev_b32_e32 v10, 8, v6
	v_bfe_u32 v11, v6, 20, 11
	v_sub_u32_e32 v12, 0x3f1, v9
	v_cndmask_b32_e64 v5, 0, 1, vcc
	v_and_or_b32 v1, v8, s10, v1
	v_sub_u32_e32 v13, 0x3f1, v11
	v_med3_i32 v8, v12, 0, 13
	v_and_or_b32 v5, v10, s10, v5
	v_or_b32_e32 v12, 0x1000, v1
	v_add_u32_e32 v9, 0xfffffc10, v9
	v_med3_i32 v10, v13, 0, 13
	v_cmp_ne_u32_e32 vcc, 0, v1
	v_or_b32_e32 v14, 0x1000, v5
	v_lshrrev_b32_e32 v16, v8, v12
	v_add_u32_e32 v11, 0xfffffc10, v11
	v_lshl_or_b32 v13, v9, 12, v1
	v_cndmask_b32_e64 v1, 0, 1, vcc
	v_cmp_ne_u32_e32 vcc, 0, v5
	v_lshrrev_b32_e32 v17, v10, v14
	v_lshlrev_b32_e32 v8, v8, v16
	v_lshl_or_b32 v15, v11, 12, v5
	v_cndmask_b32_e64 v5, 0, 1, vcc
	v_lshlrev_b32_e32 v10, v10, v17
	v_cmp_ne_u32_e32 vcc, v8, v12
	v_cndmask_b32_e64 v8, 0, 1, vcc
	v_cmp_ne_u32_e32 vcc, v10, v14
	v_cndmask_b32_e64 v10, 0, 1, vcc
	v_or_b32_e32 v8, v16, v8
	v_cmp_gt_i32_e32 vcc, 1, v9
	v_cndmask_b32_e32 v8, v13, v8, vcc
	v_or_b32_e32 v10, v17, v10
	v_cmp_gt_i32_e32 vcc, 1, v11
	v_and_b32_e32 v12, 7, v8
	v_cndmask_b32_e32 v10, v15, v10, vcc
	v_cmp_lt_i32_e32 vcc, 5, v12
	v_cmp_eq_u32_e64 s[0:1], 3, v12
	v_lshrrev_b32_e32 v8, 2, v8
	v_and_b32_e32 v13, 7, v10
	s_or_b64 vcc, s[0:1], vcc
	v_cmp_lt_i32_e64 s[2:3], 5, v13
	v_cmp_eq_u32_e64 s[4:5], 3, v13
	v_addc_co_u32_e32 v8, vcc, 0, v8, vcc
	v_lshrrev_b32_e32 v10, 2, v10
	s_or_b64 vcc, s[4:5], s[2:3]
	v_addc_co_u32_e32 v10, vcc, 0, v10, vcc
	v_cmp_gt_i32_e32 vcc, 31, v9
	v_cndmask_b32_e32 v8, v0, v8, vcc
	v_cmp_gt_i32_e32 vcc, 31, v11
	v_lshl_or_b32 v1, v1, 9, v0
	v_lshl_or_b32 v5, v5, 9, v0
	v_cndmask_b32_e32 v0, v0, v10, vcc
	v_cmp_eq_u32_e32 vcc, s18, v9
	v_lshrrev_b32_e32 v2, 16, v2
	v_cndmask_b32_e32 v1, v8, v1, vcc
	v_cmp_eq_u32_e32 vcc, s18, v11
	v_lshrrev_b32_e32 v6, 16, v6
	v_cndmask_b32_e32 v0, v0, v5, vcc
	v_and_or_b32 v1, v2, s17, v1
	v_and_or_b32 v0, v6, s17, v0
	v_and_b32_e32 v1, 0xffff, v1
	v_lshl_or_b32 v2, v0, 16, v1
	v_add_co_u32_e32 v0, vcc, s8, v3
	v_addc_co_u32_e32 v1, vcc, v4, v7, vcc
	global_store_dword v[0:1], v2, off
.LBB0_15:
	s_endpgm
	.section	.rodata,"a",@progbits
	.p2align	6, 0x0
	.amdhsa_kernel bluestein_single_fwd_len1275_dim1_half_op_CI_CI
		.amdhsa_group_segment_fixed_size 15300
		.amdhsa_private_segment_fixed_size 0
		.amdhsa_kernarg_size 104
		.amdhsa_user_sgpr_count 6
		.amdhsa_user_sgpr_private_segment_buffer 1
		.amdhsa_user_sgpr_dispatch_ptr 0
		.amdhsa_user_sgpr_queue_ptr 0
		.amdhsa_user_sgpr_kernarg_segment_ptr 1
		.amdhsa_user_sgpr_dispatch_id 0
		.amdhsa_user_sgpr_flat_scratch_init 0
		.amdhsa_user_sgpr_private_segment_size 0
		.amdhsa_uses_dynamic_stack 0
		.amdhsa_system_sgpr_private_segment_wavefront_offset 0
		.amdhsa_system_sgpr_workgroup_id_x 1
		.amdhsa_system_sgpr_workgroup_id_y 0
		.amdhsa_system_sgpr_workgroup_id_z 0
		.amdhsa_system_sgpr_workgroup_info 0
		.amdhsa_system_vgpr_workitem_id 0
		.amdhsa_next_free_vgpr 247
		.amdhsa_next_free_sgpr 43
		.amdhsa_reserve_vcc 1
		.amdhsa_reserve_flat_scratch 0
		.amdhsa_float_round_mode_32 0
		.amdhsa_float_round_mode_16_64 0
		.amdhsa_float_denorm_mode_32 3
		.amdhsa_float_denorm_mode_16_64 3
		.amdhsa_dx10_clamp 1
		.amdhsa_ieee_mode 1
		.amdhsa_fp16_overflow 0
		.amdhsa_exception_fp_ieee_invalid_op 0
		.amdhsa_exception_fp_denorm_src 0
		.amdhsa_exception_fp_ieee_div_zero 0
		.amdhsa_exception_fp_ieee_overflow 0
		.amdhsa_exception_fp_ieee_underflow 0
		.amdhsa_exception_fp_ieee_inexact 0
		.amdhsa_exception_int_div_zero 0
	.end_amdhsa_kernel
	.text
.Lfunc_end0:
	.size	bluestein_single_fwd_len1275_dim1_half_op_CI_CI, .Lfunc_end0-bluestein_single_fwd_len1275_dim1_half_op_CI_CI
                                        ; -- End function
	.section	.AMDGPU.csdata,"",@progbits
; Kernel info:
; codeLenInByte = 31624
; NumSgprs: 47
; NumVgprs: 247
; ScratchSize: 0
; MemoryBound: 0
; FloatMode: 240
; IeeeMode: 1
; LDSByteSize: 15300 bytes/workgroup (compile time only)
; SGPRBlocks: 5
; VGPRBlocks: 61
; NumSGPRsForWavesPerEU: 47
; NumVGPRsForWavesPerEU: 247
; Occupancy: 1
; WaveLimiterHint : 1
; COMPUTE_PGM_RSRC2:SCRATCH_EN: 0
; COMPUTE_PGM_RSRC2:USER_SGPR: 6
; COMPUTE_PGM_RSRC2:TRAP_HANDLER: 0
; COMPUTE_PGM_RSRC2:TGID_X_EN: 1
; COMPUTE_PGM_RSRC2:TGID_Y_EN: 0
; COMPUTE_PGM_RSRC2:TGID_Z_EN: 0
; COMPUTE_PGM_RSRC2:TIDIG_COMP_CNT: 0
	.type	__hip_cuid_4ea277a3d436d1b5,@object ; @__hip_cuid_4ea277a3d436d1b5
	.section	.bss,"aw",@nobits
	.globl	__hip_cuid_4ea277a3d436d1b5
__hip_cuid_4ea277a3d436d1b5:
	.byte	0                               ; 0x0
	.size	__hip_cuid_4ea277a3d436d1b5, 1

	.ident	"AMD clang version 19.0.0git (https://github.com/RadeonOpenCompute/llvm-project roc-6.4.0 25133 c7fe45cf4b819c5991fe208aaa96edf142730f1d)"
	.section	".note.GNU-stack","",@progbits
	.addrsig
	.addrsig_sym __hip_cuid_4ea277a3d436d1b5
	.amdgpu_metadata
---
amdhsa.kernels:
  - .args:
      - .actual_access:  read_only
        .address_space:  global
        .offset:         0
        .size:           8
        .value_kind:     global_buffer
      - .actual_access:  read_only
        .address_space:  global
        .offset:         8
        .size:           8
        .value_kind:     global_buffer
      - .actual_access:  read_only
        .address_space:  global
        .offset:         16
        .size:           8
        .value_kind:     global_buffer
      - .actual_access:  read_only
        .address_space:  global
        .offset:         24
        .size:           8
        .value_kind:     global_buffer
      - .actual_access:  read_only
        .address_space:  global
        .offset:         32
        .size:           8
        .value_kind:     global_buffer
      - .offset:         40
        .size:           8
        .value_kind:     by_value
      - .address_space:  global
        .offset:         48
        .size:           8
        .value_kind:     global_buffer
      - .address_space:  global
        .offset:         56
        .size:           8
        .value_kind:     global_buffer
      - .address_space:  global
        .offset:         64
        .size:           8
        .value_kind:     global_buffer
      - .address_space:  global
        .offset:         72
        .size:           8
        .value_kind:     global_buffer
      - .offset:         80
        .size:           4
        .value_kind:     by_value
      - .address_space:  global
        .offset:         88
        .size:           8
        .value_kind:     global_buffer
      - .address_space:  global
        .offset:         96
        .size:           8
        .value_kind:     global_buffer
    .group_segment_fixed_size: 15300
    .kernarg_segment_align: 8
    .kernarg_segment_size: 104
    .language:       OpenCL C
    .language_version:
      - 2
      - 0
    .max_flat_workgroup_size: 255
    .name:           bluestein_single_fwd_len1275_dim1_half_op_CI_CI
    .private_segment_fixed_size: 0
    .sgpr_count:     47
    .sgpr_spill_count: 0
    .symbol:         bluestein_single_fwd_len1275_dim1_half_op_CI_CI.kd
    .uniform_work_group_size: 1
    .uses_dynamic_stack: false
    .vgpr_count:     247
    .vgpr_spill_count: 0
    .wavefront_size: 64
amdhsa.target:   amdgcn-amd-amdhsa--gfx906
amdhsa.version:
  - 1
  - 2
...

	.end_amdgpu_metadata
